;; amdgpu-corpus repo=ROCm/rocFFT kind=compiled arch=gfx906 opt=O3
	.text
	.amdgcn_target "amdgcn-amd-amdhsa--gfx906"
	.amdhsa_code_object_version 6
	.protected	fft_rtc_back_len2401_factors_7_7_7_7_wgs_49_tpt_49_halfLds_half_ip_CI_sbrr_dirReg ; -- Begin function fft_rtc_back_len2401_factors_7_7_7_7_wgs_49_tpt_49_halfLds_half_ip_CI_sbrr_dirReg
	.globl	fft_rtc_back_len2401_factors_7_7_7_7_wgs_49_tpt_49_halfLds_half_ip_CI_sbrr_dirReg
	.p2align	8
	.type	fft_rtc_back_len2401_factors_7_7_7_7_wgs_49_tpt_49_halfLds_half_ip_CI_sbrr_dirReg,@function
fft_rtc_back_len2401_factors_7_7_7_7_wgs_49_tpt_49_halfLds_half_ip_CI_sbrr_dirReg: ; @fft_rtc_back_len2401_factors_7_7_7_7_wgs_49_tpt_49_halfLds_half_ip_CI_sbrr_dirReg
; %bb.0:
	s_load_dwordx2 s[14:15], s[4:5], 0x18
	s_load_dwordx4 s[8:11], s[4:5], 0x0
	s_load_dwordx2 s[12:13], s[4:5], 0x50
	v_mul_u32_u24_e32 v1, 0x53a, v0
	v_add_u32_sdwa v5, s6, v1 dst_sel:DWORD dst_unused:UNUSED_PAD src0_sel:DWORD src1_sel:WORD_1
	s_waitcnt lgkmcnt(0)
	s_load_dwordx2 s[2:3], s[14:15], 0x0
	v_cmp_lt_u64_e64 s[0:1], s[10:11], 2
	v_mov_b32_e32 v3, 0
	v_mov_b32_e32 v1, 0
	;; [unrolled: 1-line block ×3, first 2 shown]
	s_and_b64 vcc, exec, s[0:1]
	v_mov_b32_e32 v2, 0
	s_cbranch_vccnz .LBB0_8
; %bb.1:
	s_load_dwordx2 s[0:1], s[4:5], 0x10
	s_add_u32 s6, s14, 8
	s_addc_u32 s7, s15, 0
	v_mov_b32_e32 v1, 0
	v_mov_b32_e32 v2, 0
	s_waitcnt lgkmcnt(0)
	s_add_u32 s16, s0, 8
	s_addc_u32 s17, s1, 0
	s_mov_b64 s[18:19], 1
.LBB0_2:                                ; =>This Inner Loop Header: Depth=1
	s_load_dwordx2 s[20:21], s[16:17], 0x0
                                        ; implicit-def: $vgpr7_vgpr8
	s_waitcnt lgkmcnt(0)
	v_or_b32_e32 v4, s21, v6
	v_cmp_ne_u64_e32 vcc, 0, v[3:4]
	s_and_saveexec_b64 s[0:1], vcc
	s_xor_b64 s[22:23], exec, s[0:1]
	s_cbranch_execz .LBB0_4
; %bb.3:                                ;   in Loop: Header=BB0_2 Depth=1
	v_cvt_f32_u32_e32 v4, s20
	v_cvt_f32_u32_e32 v7, s21
	s_sub_u32 s0, 0, s20
	s_subb_u32 s1, 0, s21
	v_mac_f32_e32 v4, 0x4f800000, v7
	v_rcp_f32_e32 v4, v4
	v_mul_f32_e32 v4, 0x5f7ffffc, v4
	v_mul_f32_e32 v7, 0x2f800000, v4
	v_trunc_f32_e32 v7, v7
	v_mac_f32_e32 v4, 0xcf800000, v7
	v_cvt_u32_f32_e32 v7, v7
	v_cvt_u32_f32_e32 v4, v4
	v_mul_lo_u32 v8, s0, v7
	v_mul_hi_u32 v9, s0, v4
	v_mul_lo_u32 v11, s1, v4
	v_mul_lo_u32 v10, s0, v4
	v_add_u32_e32 v8, v9, v8
	v_add_u32_e32 v8, v8, v11
	v_mul_hi_u32 v9, v4, v10
	v_mul_lo_u32 v11, v4, v8
	v_mul_hi_u32 v13, v4, v8
	v_mul_hi_u32 v12, v7, v10
	v_mul_lo_u32 v10, v7, v10
	v_mul_hi_u32 v14, v7, v8
	v_add_co_u32_e32 v9, vcc, v9, v11
	v_addc_co_u32_e32 v11, vcc, 0, v13, vcc
	v_mul_lo_u32 v8, v7, v8
	v_add_co_u32_e32 v9, vcc, v9, v10
	v_addc_co_u32_e32 v9, vcc, v11, v12, vcc
	v_addc_co_u32_e32 v10, vcc, 0, v14, vcc
	v_add_co_u32_e32 v8, vcc, v9, v8
	v_addc_co_u32_e32 v9, vcc, 0, v10, vcc
	v_add_co_u32_e32 v4, vcc, v4, v8
	v_addc_co_u32_e32 v7, vcc, v7, v9, vcc
	v_mul_lo_u32 v8, s0, v7
	v_mul_hi_u32 v9, s0, v4
	v_mul_lo_u32 v10, s1, v4
	v_mul_lo_u32 v11, s0, v4
	v_add_u32_e32 v8, v9, v8
	v_add_u32_e32 v8, v8, v10
	v_mul_lo_u32 v12, v4, v8
	v_mul_hi_u32 v13, v4, v11
	v_mul_hi_u32 v14, v4, v8
	;; [unrolled: 1-line block ×3, first 2 shown]
	v_mul_lo_u32 v11, v7, v11
	v_mul_hi_u32 v9, v7, v8
	v_add_co_u32_e32 v12, vcc, v13, v12
	v_addc_co_u32_e32 v13, vcc, 0, v14, vcc
	v_mul_lo_u32 v8, v7, v8
	v_add_co_u32_e32 v11, vcc, v12, v11
	v_addc_co_u32_e32 v10, vcc, v13, v10, vcc
	v_addc_co_u32_e32 v9, vcc, 0, v9, vcc
	v_add_co_u32_e32 v8, vcc, v10, v8
	v_addc_co_u32_e32 v9, vcc, 0, v9, vcc
	v_add_co_u32_e32 v4, vcc, v4, v8
	v_addc_co_u32_e32 v9, vcc, v7, v9, vcc
	v_mad_u64_u32 v[7:8], s[0:1], v5, v9, 0
	v_mul_hi_u32 v10, v5, v4
	v_add_co_u32_e32 v11, vcc, v10, v7
	v_addc_co_u32_e32 v12, vcc, 0, v8, vcc
	v_mad_u64_u32 v[7:8], s[0:1], v6, v4, 0
	v_mad_u64_u32 v[9:10], s[0:1], v6, v9, 0
	v_add_co_u32_e32 v4, vcc, v11, v7
	v_addc_co_u32_e32 v4, vcc, v12, v8, vcc
	v_addc_co_u32_e32 v7, vcc, 0, v10, vcc
	v_add_co_u32_e32 v4, vcc, v4, v9
	v_addc_co_u32_e32 v9, vcc, 0, v7, vcc
	v_mul_lo_u32 v10, s21, v4
	v_mul_lo_u32 v11, s20, v9
	v_mad_u64_u32 v[7:8], s[0:1], s20, v4, 0
	v_add3_u32 v8, v8, v11, v10
	v_sub_u32_e32 v10, v6, v8
	v_mov_b32_e32 v11, s21
	v_sub_co_u32_e32 v7, vcc, v5, v7
	v_subb_co_u32_e64 v10, s[0:1], v10, v11, vcc
	v_subrev_co_u32_e64 v11, s[0:1], s20, v7
	v_subbrev_co_u32_e64 v10, s[0:1], 0, v10, s[0:1]
	v_cmp_le_u32_e64 s[0:1], s21, v10
	v_cndmask_b32_e64 v12, 0, -1, s[0:1]
	v_cmp_le_u32_e64 s[0:1], s20, v11
	v_cndmask_b32_e64 v11, 0, -1, s[0:1]
	v_cmp_eq_u32_e64 s[0:1], s21, v10
	v_cndmask_b32_e64 v10, v12, v11, s[0:1]
	v_add_co_u32_e64 v11, s[0:1], 2, v4
	v_addc_co_u32_e64 v12, s[0:1], 0, v9, s[0:1]
	v_add_co_u32_e64 v13, s[0:1], 1, v4
	v_addc_co_u32_e64 v14, s[0:1], 0, v9, s[0:1]
	v_subb_co_u32_e32 v8, vcc, v6, v8, vcc
	v_cmp_ne_u32_e64 s[0:1], 0, v10
	v_cmp_le_u32_e32 vcc, s21, v8
	v_cndmask_b32_e64 v10, v14, v12, s[0:1]
	v_cndmask_b32_e64 v12, 0, -1, vcc
	v_cmp_le_u32_e32 vcc, s20, v7
	v_cndmask_b32_e64 v7, 0, -1, vcc
	v_cmp_eq_u32_e32 vcc, s21, v8
	v_cndmask_b32_e32 v7, v12, v7, vcc
	v_cmp_ne_u32_e32 vcc, 0, v7
	v_cndmask_b32_e64 v7, v13, v11, s[0:1]
	v_cndmask_b32_e32 v8, v9, v10, vcc
	v_cndmask_b32_e32 v7, v4, v7, vcc
.LBB0_4:                                ;   in Loop: Header=BB0_2 Depth=1
	s_andn2_saveexec_b64 s[0:1], s[22:23]
	s_cbranch_execz .LBB0_6
; %bb.5:                                ;   in Loop: Header=BB0_2 Depth=1
	v_cvt_f32_u32_e32 v4, s20
	s_sub_i32 s22, 0, s20
	v_rcp_iflag_f32_e32 v4, v4
	v_mul_f32_e32 v4, 0x4f7ffffe, v4
	v_cvt_u32_f32_e32 v4, v4
	v_mul_lo_u32 v7, s22, v4
	v_mul_hi_u32 v7, v4, v7
	v_add_u32_e32 v4, v4, v7
	v_mul_hi_u32 v4, v5, v4
	v_mul_lo_u32 v7, v4, s20
	v_add_u32_e32 v8, 1, v4
	v_sub_u32_e32 v7, v5, v7
	v_subrev_u32_e32 v9, s20, v7
	v_cmp_le_u32_e32 vcc, s20, v7
	v_cndmask_b32_e32 v7, v7, v9, vcc
	v_cndmask_b32_e32 v4, v4, v8, vcc
	v_add_u32_e32 v8, 1, v4
	v_cmp_le_u32_e32 vcc, s20, v7
	v_cndmask_b32_e32 v7, v4, v8, vcc
	v_mov_b32_e32 v8, v3
.LBB0_6:                                ;   in Loop: Header=BB0_2 Depth=1
	s_or_b64 exec, exec, s[0:1]
	v_mul_lo_u32 v4, v8, s20
	v_mul_lo_u32 v11, v7, s21
	v_mad_u64_u32 v[9:10], s[0:1], v7, s20, 0
	s_load_dwordx2 s[0:1], s[6:7], 0x0
	s_add_u32 s18, s18, 1
	v_add3_u32 v4, v10, v11, v4
	v_sub_co_u32_e32 v5, vcc, v5, v9
	v_subb_co_u32_e32 v4, vcc, v6, v4, vcc
	s_waitcnt lgkmcnt(0)
	v_mul_lo_u32 v4, s0, v4
	v_mul_lo_u32 v6, s1, v5
	v_mad_u64_u32 v[1:2], s[0:1], s0, v5, v[1:2]
	s_addc_u32 s19, s19, 0
	s_add_u32 s6, s6, 8
	v_add3_u32 v2, v6, v2, v4
	v_mov_b32_e32 v4, s10
	v_mov_b32_e32 v5, s11
	s_addc_u32 s7, s7, 0
	v_cmp_ge_u64_e32 vcc, s[18:19], v[4:5]
	s_add_u32 s16, s16, 8
	s_addc_u32 s17, s17, 0
	s_cbranch_vccnz .LBB0_9
; %bb.7:                                ;   in Loop: Header=BB0_2 Depth=1
	v_mov_b32_e32 v5, v7
	v_mov_b32_e32 v6, v8
	s_branch .LBB0_2
.LBB0_8:
	v_mov_b32_e32 v8, v6
	v_mov_b32_e32 v7, v5
.LBB0_9:
	s_lshl_b64 s[0:1], s[10:11], 3
	s_add_u32 s0, s14, s0
	s_addc_u32 s1, s15, s1
	s_load_dwordx2 s[6:7], s[0:1], 0x0
	s_load_dwordx2 s[10:11], s[4:5], 0x20
                                        ; implicit-def: $vgpr19
                                        ; implicit-def: $vgpr16
                                        ; implicit-def: $vgpr17
                                        ; implicit-def: $vgpr18
                                        ; implicit-def: $vgpr20
                                        ; implicit-def: $vgpr22
	s_waitcnt lgkmcnt(0)
	v_mad_u64_u32 v[1:2], s[0:1], s6, v7, v[1:2]
	s_mov_b32 s0, 0x539782a
	v_mul_lo_u32 v3, s6, v8
	v_mul_lo_u32 v4, s7, v7
	v_mul_hi_u32 v5, v0, s0
	v_cmp_gt_u64_e32 vcc, s[10:11], v[7:8]
	v_cmp_le_u64_e64 s[0:1], s[10:11], v[7:8]
	v_add3_u32 v2, v4, v2, v3
	v_mul_u32_u24_e32 v3, 49, v5
	v_sub_u32_e32 v14, v0, v3
	v_add_u32_e32 v15, 49, v14
                                        ; implicit-def: $sgpr6
	s_and_saveexec_b64 s[4:5], s[0:1]
	s_xor_b64 s[0:1], exec, s[4:5]
; %bb.10:
	v_add_u32_e32 v19, 49, v14
	v_add_u32_e32 v16, 0x62, v14
	;; [unrolled: 1-line block ×6, first 2 shown]
	s_mov_b32 s6, 0
; %bb.11:
	s_or_saveexec_b64 s[4:5], s[0:1]
	v_lshlrev_b64 v[12:13], 2, v[1:2]
	v_mov_b32_e32 v6, s6
	v_mov_b32_e32 v5, s6
	;; [unrolled: 1-line block ×28, first 2 shown]
                                        ; implicit-def: $vgpr51
                                        ; implicit-def: $vgpr55
                                        ; implicit-def: $vgpr49
                                        ; implicit-def: $vgpr56
                                        ; implicit-def: $vgpr46
                                        ; implicit-def: $vgpr63
                                        ; implicit-def: $vgpr42
                                        ; implicit-def: $vgpr81
                                        ; implicit-def: $vgpr93
                                        ; implicit-def: $vgpr95
                                        ; implicit-def: $vgpr2
                                        ; implicit-def: $vgpr104
                                        ; implicit-def: $vgpr7
                                        ; implicit-def: $vgpr23
                                        ; implicit-def: $vgpr60
                                        ; implicit-def: $vgpr61
                                        ; implicit-def: $vgpr71
                                        ; implicit-def: $vgpr75
                                        ; implicit-def: $vgpr90
                                        ; implicit-def: $vgpr92
                                        ; implicit-def: $vgpr101
                                        ; implicit-def: $vgpr103
                                        ; implicit-def: $vgpr108
                                        ; implicit-def: $vgpr109
                                        ; implicit-def: $vgpr111
                                        ; implicit-def: $vgpr112
                                        ; implicit-def: $vgpr26
                                        ; implicit-def: $vgpr27
	s_xor_b64 exec, exec, s[4:5]
	s_cbranch_execz .LBB0_13
; %bb.12:
	v_mad_u64_u32 v[0:1], s[0:1], s2, v14, 0
	v_add_u32_e32 v5, 0x157, v14
	v_mov_b32_e32 v4, s13
	v_mad_u64_u32 v[1:2], s[0:1], s3, v14, v[1:2]
	v_mad_u64_u32 v[2:3], s[0:1], s2, v5, 0
	v_add_co_u32_e64 v19, s[0:1], s12, v12
	v_addc_co_u32_e64 v23, s[0:1], v4, v13, s[0:1]
	v_mad_u64_u32 v[3:4], s[0:1], s3, v5, v[3:4]
	v_add_u32_e32 v6, 0x2ae, v14
	v_mad_u64_u32 v[4:5], s[0:1], s2, v6, 0
	v_lshlrev_b64 v[0:1], 2, v[0:1]
	v_add_u32_e32 v11, 0x2df, v14
	v_add_co_u32_e64 v8, s[0:1], v19, v0
	v_addc_co_u32_e64 v9, s[0:1], v23, v1, s[0:1]
	v_lshlrev_b64 v[0:1], 2, v[2:3]
	v_mov_b32_e32 v2, v5
	v_mad_u64_u32 v[2:3], s[0:1], s3, v6, v[2:3]
	v_add_u32_e32 v3, 0x405, v14
	v_mad_u64_u32 v[6:7], s[0:1], s2, v3, 0
	v_add_co_u32_e64 v16, s[0:1], v19, v0
	v_mov_b32_e32 v5, v2
	v_mov_b32_e32 v2, v7
	v_addc_co_u32_e64 v17, s[0:1], v23, v1, s[0:1]
	v_lshlrev_b64 v[0:1], 2, v[4:5]
	v_mad_u64_u32 v[2:3], s[0:1], s3, v3, v[2:3]
	v_add_u32_e32 v5, 0x55c, v14
	v_mad_u64_u32 v[3:4], s[0:1], s2, v5, 0
	v_add_co_u32_e64 v24, s[0:1], v19, v0
	v_mov_b32_e32 v7, v2
	v_mov_b32_e32 v2, v4
	v_addc_co_u32_e64 v25, s[0:1], v23, v1, s[0:1]
	v_lshlrev_b64 v[0:1], 2, v[6:7]
	v_mad_u64_u32 v[4:5], s[0:1], s3, v5, v[2:3]
	v_add_u32_e32 v7, 0x6b3, v14
	v_mad_u64_u32 v[5:6], s[0:1], s2, v7, 0
	v_add_co_u32_e64 v28, s[0:1], v19, v0
	v_mov_b32_e32 v2, v6
	v_addc_co_u32_e64 v29, s[0:1], v23, v1, s[0:1]
	v_lshlrev_b64 v[0:1], 2, v[3:4]
	v_mad_u64_u32 v[2:3], s[0:1], s3, v7, v[2:3]
	v_add_u32_e32 v7, 0x80a, v14
	v_mad_u64_u32 v[3:4], s[0:1], s2, v7, 0
	v_add_co_u32_e64 v30, s[0:1], v19, v0
	v_mov_b32_e32 v6, v2
	v_mov_b32_e32 v2, v4
	v_addc_co_u32_e64 v31, s[0:1], v23, v1, s[0:1]
	v_lshlrev_b64 v[0:1], 2, v[5:6]
	v_mad_u64_u32 v[4:5], s[0:1], s3, v7, v[2:3]
	v_mad_u64_u32 v[5:6], s[0:1], s2, v15, 0
	v_add_co_u32_e64 v32, s[0:1], v19, v0
	v_mov_b32_e32 v2, v6
	v_addc_co_u32_e64 v33, s[0:1], v23, v1, s[0:1]
	v_lshlrev_b64 v[0:1], 2, v[3:4]
	v_mad_u64_u32 v[2:3], s[0:1], s3, v15, v[2:3]
	v_add_co_u32_e64 v3, s[0:1], v19, v0
	v_mov_b32_e32 v6, v2
	v_add_u32_e32 v2, 0x188, v14
	v_addc_co_u32_e64 v4, s[0:1], v23, v1, s[0:1]
	v_mad_u64_u32 v[34:35], s[0:1], s2, v2, 0
	v_lshlrev_b64 v[0:1], 2, v[5:6]
	v_add_u32_e32 v20, 0x21b, v14
	v_add_co_u32_e64 v36, s[0:1], v19, v0
	v_mov_b32_e32 v0, v35
	v_addc_co_u32_e64 v37, s[0:1], v23, v1, s[0:1]
	v_mad_u64_u32 v[1:2], s[0:1], s3, v2, v[0:1]
	global_load_dword v5, v[8:9], off
	global_load_dword v6, v[16:17], off
	;; [unrolled: 1-line block ×8, first 2 shown]
	v_mad_u64_u32 v[38:39], s[0:1], s2, v11, 0
	v_mov_b32_e32 v35, v1
	v_lshlrev_b64 v[1:2], 2, v[34:35]
	v_mov_b32_e32 v3, v39
	v_mad_u64_u32 v[3:4], s[0:1], s3, v11, v[3:4]
	v_add_u32_e32 v4, 0x436, v14
	v_mad_u64_u32 v[8:9], s[0:1], s2, v4, 0
	v_add_co_u32_e64 v17, s[0:1], v19, v1
	v_mov_b32_e32 v39, v3
	v_mov_b32_e32 v3, v9
	v_addc_co_u32_e64 v18, s[0:1], v23, v2, s[0:1]
	v_mad_u64_u32 v[3:4], s[0:1], s3, v4, v[3:4]
	v_add_u32_e32 v4, 0x58d, v14
	v_mad_u64_u32 v[24:25], s[0:1], s2, v4, 0
	v_lshlrev_b64 v[1:2], 2, v[38:39]
	v_mov_b32_e32 v9, v3
	v_add_co_u32_e64 v28, s[0:1], v19, v1
	v_mov_b32_e32 v3, v25
	v_addc_co_u32_e64 v29, s[0:1], v23, v2, s[0:1]
	v_mad_u64_u32 v[3:4], s[0:1], s3, v4, v[3:4]
	v_add_u32_e32 v4, 0x6e4, v14
	v_lshlrev_b64 v[1:2], 2, v[8:9]
	v_mad_u64_u32 v[8:9], s[0:1], s2, v4, 0
	v_add_co_u32_e64 v30, s[0:1], v19, v1
	v_mov_b32_e32 v25, v3
	v_mov_b32_e32 v3, v9
	v_addc_co_u32_e64 v31, s[0:1], v23, v2, s[0:1]
	v_mad_u64_u32 v[3:4], s[0:1], s3, v4, v[3:4]
	v_add_u32_e32 v4, 0x83b, v14
	v_lshlrev_b64 v[1:2], 2, v[24:25]
	v_mad_u64_u32 v[24:25], s[0:1], s2, v4, 0
	v_add_co_u32_e64 v34, s[0:1], v19, v1
	v_mov_b32_e32 v9, v3
	v_mov_b32_e32 v3, v25
	v_add_u32_e32 v16, 0x62, v14
	v_addc_co_u32_e64 v35, s[0:1], v23, v2, s[0:1]
	v_lshlrev_b64 v[1:2], 2, v[8:9]
	v_mad_u64_u32 v[3:4], s[0:1], s3, v4, v[3:4]
	v_mad_u64_u32 v[8:9], s[0:1], s2, v16, 0
	v_add_co_u32_e64 v36, s[0:1], v19, v1
	v_mov_b32_e32 v25, v3
	v_mov_b32_e32 v3, v9
	v_addc_co_u32_e64 v37, s[0:1], v23, v2, s[0:1]
	v_mad_u64_u32 v[3:4], s[0:1], s3, v16, v[3:4]
	v_add_u32_e32 v4, 0x1b9, v14
	v_lshlrev_b64 v[1:2], 2, v[24:25]
	v_mad_u64_u32 v[24:25], s[0:1], s2, v4, 0
	v_add_co_u32_e64 v38, s[0:1], v19, v1
	v_mov_b32_e32 v9, v3
	v_mov_b32_e32 v3, v25
	v_addc_co_u32_e64 v39, s[0:1], v23, v2, s[0:1]
	v_mad_u64_u32 v[3:4], s[0:1], s3, v4, v[3:4]
	v_lshlrev_b64 v[1:2], 2, v[8:9]
	v_add_u32_e32 v11, 0x467, v14
	v_add_co_u32_e64 v40, s[0:1], v19, v1
	v_mov_b32_e32 v25, v3
	v_addc_co_u32_e64 v41, s[0:1], v23, v2, s[0:1]
	v_lshlrev_b64 v[1:2], 2, v[24:25]
	v_add_u32_e32 v3, 0x310, v14
	v_mad_u64_u32 v[42:43], s[0:1], s2, v3, 0
	v_add_co_u32_e64 v44, s[0:1], v19, v1
	v_addc_co_u32_e64 v45, s[0:1], v23, v2, s[0:1]
	v_mad_u64_u32 v[46:47], s[0:1], s2, v11, 0
	v_mov_b32_e32 v1, v43
	v_mad_u64_u32 v[24:25], s[0:1], s3, v3, v[1:2]
	v_mov_b32_e32 v9, v47
	global_load_dword v3, v[17:18], off
	global_load_dword v8, v[28:29], off
	;; [unrolled: 1-line block ×8, first 2 shown]
	s_waitcnt vmcnt(13)
	v_mad_u64_u32 v[28:29], s[0:1], s3, v11, v[9:10]
	v_add_u32_e32 v11, 0x5be, v14
	v_mad_u64_u32 v[29:30], s[0:1], s2, v11, 0
	v_mov_b32_e32 v43, v24
	v_lshlrev_b64 v[17:18], 2, v[42:43]
	v_mov_b32_e32 v9, v30
	v_add_co_u32_e64 v36, s[0:1], v19, v17
	v_addc_co_u32_e64 v37, s[0:1], v23, v18, s[0:1]
	v_mad_u64_u32 v[30:31], s[0:1], s3, v11, v[9:10]
	v_add_u32_e32 v11, 0x715, v14
	v_mad_u64_u32 v[34:35], s[0:1], s2, v11, 0
	v_mov_b32_e32 v47, v28
	v_lshlrev_b64 v[17:18], 2, v[46:47]
	v_mov_b32_e32 v9, v35
	v_add_co_u32_e64 v38, s[0:1], v19, v17
	v_addc_co_u32_e64 v39, s[0:1], v23, v18, s[0:1]
	v_lshlrev_b64 v[17:18], 2, v[29:30]
	v_mad_u64_u32 v[28:29], s[0:1], s3, v11, v[9:10]
	v_add_co_u32_e64 v29, s[0:1], v19, v17
	v_add_u32_e32 v11, 0x86c, v14
	v_addc_co_u32_e64 v30, s[0:1], v23, v18, s[0:1]
	v_mad_u64_u32 v[40:41], s[0:1], s2, v11, 0
	v_mov_b32_e32 v35, v28
	v_lshlrev_b64 v[17:18], 2, v[34:35]
	v_mov_b32_e32 v9, v41
	v_add_co_u32_e64 v42, s[0:1], v19, v17
	v_addc_co_u32_e64 v43, s[0:1], v23, v18, s[0:1]
	v_mad_u64_u32 v[44:45], s[0:1], s3, v11, v[9:10]
	v_add_u32_e32 v17, 0x93, v14
	v_mad_u64_u32 v[45:46], s[0:1], s2, v17, 0
	v_add_u32_e32 v18, 0x1ea, v14
	global_load_dword v9, v[36:37], off
	global_load_dword v34, v[38:39], off
	;; [unrolled: 1-line block ×4, first 2 shown]
	v_mov_b32_e32 v11, v46
	v_mad_u64_u32 v[36:37], s[0:1], s2, v18, 0
	v_mov_b32_e32 v41, v44
	v_mad_u64_u32 v[30:31], s[0:1], s3, v17, v[11:12]
	v_lshlrev_b64 v[28:29], 2, v[40:41]
	v_mov_b32_e32 v11, v37
	v_add_co_u32_e64 v38, s[0:1], v19, v28
	v_addc_co_u32_e64 v39, s[0:1], v23, v29, s[0:1]
	v_mov_b32_e32 v46, v30
	v_mad_u64_u32 v[30:31], s[0:1], s3, v18, v[11:12]
	v_add_u32_e32 v18, 0x341, v14
	v_mad_u64_u32 v[40:41], s[0:1], s2, v18, 0
	v_lshlrev_b64 v[28:29], 2, v[45:46]
	v_mov_b32_e32 v37, v30
	v_add_co_u32_e64 v52, s[0:1], v19, v28
	v_mov_b32_e32 v11, v41
	v_addc_co_u32_e64 v53, s[0:1], v23, v29, s[0:1]
	v_mad_u64_u32 v[30:31], s[0:1], s3, v18, v[11:12]
	v_add_u32_e32 v18, 0x498, v14
	v_lshlrev_b64 v[28:29], 2, v[36:37]
	v_mad_u64_u32 v[36:37], s[0:1], s2, v18, 0
	v_add_co_u32_e64 v54, s[0:1], v19, v28
	v_mov_b32_e32 v11, v37
	v_addc_co_u32_e64 v55, s[0:1], v23, v29, s[0:1]
	v_mov_b32_e32 v41, v30
	v_mad_u64_u32 v[30:31], s[0:1], s3, v18, v[11:12]
	v_add_u32_e32 v18, 0x5ef, v14
	v_lshlrev_b64 v[28:29], 2, v[40:41]
	v_mad_u64_u32 v[40:41], s[0:1], s2, v18, 0
	v_add_co_u32_e64 v56, s[0:1], v19, v28
	v_mov_b32_e32 v11, v41
	v_addc_co_u32_e64 v57, s[0:1], v23, v29, s[0:1]
	v_mov_b32_e32 v37, v30
	;; [unrolled: 8-line block ×4, first 2 shown]
	v_mad_u64_u32 v[30:31], s[0:1], s3, v18, v[11:12]
	v_add_u32_e32 v18, 0xc4, v14
	v_lshlrev_b64 v[28:29], 2, v[36:37]
	v_mad_u64_u32 v[36:37], s[0:1], s2, v18, 0
	v_add_co_u32_e64 v49, s[0:1], v19, v28
	v_mov_b32_e32 v41, v30
	v_addc_co_u32_e64 v50, s[0:1], v23, v29, s[0:1]
	v_lshlrev_b64 v[28:29], 2, v[40:41]
	v_mov_b32_e32 v11, v37
	v_mad_u64_u32 v[40:41], s[0:1], s2, v20, 0
	v_mad_u64_u32 v[30:31], s[0:1], s3, v18, v[11:12]
	v_add_co_u32_e64 v58, s[0:1], v19, v28
	v_mov_b32_e32 v11, v41
	v_addc_co_u32_e64 v59, s[0:1], v23, v29, s[0:1]
	v_mov_b32_e32 v37, v30
	v_mad_u64_u32 v[30:31], s[0:1], s3, v20, v[11:12]
	v_add_u32_e32 v20, 0x372, v14
	v_lshlrev_b64 v[28:29], 2, v[36:37]
	v_mad_u64_u32 v[36:37], s[0:1], s2, v20, 0
	v_add_co_u32_e64 v60, s[0:1], v19, v28
	v_mov_b32_e32 v11, v37
	v_addc_co_u32_e64 v61, s[0:1], v23, v29, s[0:1]
	v_mov_b32_e32 v41, v30
	v_mad_u64_u32 v[30:31], s[0:1], s3, v20, v[11:12]
	v_add_u32_e32 v20, 0x4c9, v14
	v_lshlrev_b64 v[28:29], 2, v[40:41]
	v_mad_u64_u32 v[40:41], s[0:1], s2, v20, 0
	v_add_co_u32_e64 v62, s[0:1], v19, v28
	v_mov_b32_e32 v11, v41
	v_addc_co_u32_e64 v63, s[0:1], v23, v29, s[0:1]
	v_mov_b32_e32 v37, v30
	v_mad_u64_u32 v[30:31], s[0:1], s3, v20, v[11:12]
	v_lshlrev_b64 v[28:29], 2, v[36:37]
	v_add_u32_e32 v20, 0x620, v14
	v_add_co_u32_e64 v36, s[0:1], v19, v28
	v_addc_co_u32_e64 v37, s[0:1], v23, v29, s[0:1]
	v_mov_b32_e32 v41, v30
	v_mad_u64_u32 v[30:31], s[0:1], s2, v20, 0
	v_lshlrev_b64 v[28:29], 2, v[40:41]
	v_add_u32_e32 v22, 0x777, v14
	v_add_co_u32_e64 v40, s[0:1], v19, v28
	v_mov_b32_e32 v11, v31
	v_addc_co_u32_e64 v41, s[0:1], v23, v29, s[0:1]
	v_mad_u64_u32 v[28:29], s[0:1], s3, v20, v[11:12]
	global_load_dword v77, v[45:46], off
	global_load_dword v29, v[47:48], off
	;; [unrolled: 1-line block ×8, first 2 shown]
	v_mad_u64_u32 v[64:65], s[0:1], s2, v22, 0
	v_mov_b32_e32 v31, v28
	v_lshlrev_b64 v[30:31], 2, v[30:31]
	v_mov_b32_e32 v20, v65
	s_waitcnt vmcnt(23)
	v_mad_u64_u32 v[36:37], s[0:1], s3, v22, v[20:21]
	v_add_u32_e32 v22, 0x8ce, v14
	v_mad_u64_u32 v[40:41], s[0:1], s2, v22, 0
	v_add_co_u32_e64 v49, s[0:1], v19, v30
	v_mov_b32_e32 v20, v41
	v_addc_co_u32_e64 v50, s[0:1], v23, v31, s[0:1]
	v_mov_b32_e32 v65, v36
	v_mad_u64_u32 v[36:37], s[0:1], s3, v22, v[20:21]
	v_add_u32_e32 v20, 0xf5, v14
	v_mad_u64_u32 v[45:46], s[0:1], s2, v20, 0
	v_lshlrev_b64 v[30:31], 2, v[64:65]
	v_mov_b32_e32 v41, v36
	v_add_co_u32_e64 v58, s[0:1], v19, v30
	v_add_u32_e32 v28, 0x24c, v14
	v_addc_co_u32_e64 v59, s[0:1], v23, v31, s[0:1]
	v_lshlrev_b64 v[30:31], 2, v[40:41]
	v_mov_b32_e32 v22, v46
	v_mad_u64_u32 v[40:41], s[0:1], s2, v28, 0
	v_mad_u64_u32 v[36:37], s[0:1], s3, v20, v[22:23]
	v_add_co_u32_e64 v60, s[0:1], v19, v30
	v_mov_b32_e32 v22, v41
	v_addc_co_u32_e64 v61, s[0:1], v23, v31, s[0:1]
	v_mov_b32_e32 v46, v36
	v_mad_u64_u32 v[36:37], s[0:1], s3, v28, v[22:23]
	v_add_u32_e32 v28, 0x3a3, v14
	v_lshlrev_b64 v[30:31], 2, v[45:46]
	v_mad_u64_u32 v[45:46], s[0:1], s2, v28, 0
	v_add_co_u32_e64 v62, s[0:1], v19, v30
	v_mov_b32_e32 v22, v46
	v_addc_co_u32_e64 v63, s[0:1], v23, v31, s[0:1]
	v_mov_b32_e32 v41, v36
	v_mad_u64_u32 v[36:37], s[0:1], s3, v28, v[22:23]
	v_add_u32_e32 v28, 0x4fa, v14
	v_lshlrev_b64 v[30:31], 2, v[40:41]
	v_mad_u64_u32 v[40:41], s[0:1], s2, v28, 0
	v_add_co_u32_e64 v64, s[0:1], v19, v30
	v_mov_b32_e32 v22, v41
	v_addc_co_u32_e64 v65, s[0:1], v23, v31, s[0:1]
	v_mov_b32_e32 v46, v36
	v_mad_u64_u32 v[36:37], s[0:1], s3, v28, v[22:23]
	v_lshlrev_b64 v[30:31], 2, v[45:46]
	v_add_u32_e32 v28, 0x7a8, v14
	v_add_co_u32_e64 v66, s[0:1], v19, v30
	v_mov_b32_e32 v41, v36
	v_addc_co_u32_e64 v67, s[0:1], v23, v31, s[0:1]
	v_lshlrev_b64 v[30:31], 2, v[40:41]
	v_add_u32_e32 v81, 0x651, v14
	v_add_co_u32_e64 v36, s[0:1], v19, v30
	v_addc_co_u32_e64 v37, s[0:1], v23, v31, s[0:1]
	v_mad_u64_u32 v[40:41], s[0:1], s2, v28, 0
	global_load_dword v30, v[49:50], off
	global_load_dword v80, v[58:59], off
	;; [unrolled: 1-line block ×7, first 2 shown]
	v_mad_u64_u32 v[60:61], s[0:1], s2, v81, 0
	v_mov_b32_e32 v22, v41
	v_mad_u64_u32 v[36:37], s[0:1], s3, v28, v[22:23]
	v_add_u32_e32 v28, 0x8ff, v14
	v_mad_u64_u32 v[49:50], s[0:1], s2, v28, 0
	v_mov_b32_e32 v41, v36
	v_lshlrev_b64 v[36:37], 2, v[40:41]
	v_mov_b32_e32 v22, v50
	v_mad_u64_u32 v[40:41], s[0:1], s3, v28, v[22:23]
	v_add_u32_e32 v22, 0x126, v14
	v_mad_u64_u32 v[58:59], s[0:1], s2, v22, 0
	v_add_co_u32_e64 v36, s[0:1], v19, v36
	v_mov_b32_e32 v50, v40
	v_mov_b32_e32 v28, v59
	v_addc_co_u32_e64 v37, s[0:1], v23, v37, s[0:1]
	v_lshlrev_b64 v[40:41], 2, v[49:50]
	s_waitcnt vmcnt(13)
	v_mad_u64_u32 v[49:50], s[0:1], s3, v22, v[28:29]
	v_add_u32_e32 v31, 0x27d, v14
	v_mad_u64_u32 v[50:51], s[0:1], s2, v31, 0
	v_add_co_u32_e64 v40, s[0:1], v19, v40
	v_mov_b32_e32 v28, v51
	v_addc_co_u32_e64 v41, s[0:1], v23, v41, s[0:1]
	v_mad_u64_u32 v[62:63], s[0:1], s3, v31, v[28:29]
	v_add_u32_e32 v31, 0x3d4, v14
	v_mad_u64_u32 v[63:64], s[0:1], s2, v31, 0
	v_mov_b32_e32 v59, v49
	v_lshlrev_b64 v[58:59], 2, v[58:59]
	v_mov_b32_e32 v28, v64
	v_add_co_u32_e64 v65, s[0:1], v19, v58
	v_addc_co_u32_e64 v66, s[0:1], v23, v59, s[0:1]
	v_mad_u64_u32 v[58:59], s[0:1], s3, v31, v[28:29]
	v_add_u32_e32 v31, 0x52b, v14
	v_mad_u64_u32 v[67:68], s[0:1], s2, v31, 0
	v_mov_b32_e32 v51, v62
	v_lshlrev_b64 v[49:50], 2, v[50:51]
	v_mov_b32_e32 v28, v68
	v_add_co_u32_e64 v69, s[0:1], v19, v49
	v_addc_co_u32_e64 v70, s[0:1], v23, v50, s[0:1]
	v_mov_b32_e32 v64, v58
	v_mad_u64_u32 v[58:59], s[0:1], s3, v31, v[28:29]
	v_add_u32_e32 v31, 0x682, v14
	v_lshlrev_b64 v[49:50], 2, v[63:64]
	v_mad_u64_u32 v[62:63], s[0:1], s2, v31, 0
	v_add_co_u32_e64 v71, s[0:1], v19, v49
	v_mov_b32_e32 v28, v63
	v_addc_co_u32_e64 v72, s[0:1], v23, v50, s[0:1]
	v_mov_b32_e32 v68, v58
	v_mad_u64_u32 v[58:59], s[0:1], s3, v31, v[28:29]
	v_add_u32_e32 v31, 0x7d9, v14
	v_lshlrev_b64 v[49:50], 2, v[67:68]
	v_mad_u64_u32 v[67:68], s[0:1], s2, v31, 0
	v_add_co_u32_e64 v73, s[0:1], v19, v49
	v_mov_b32_e32 v28, v68
	v_addc_co_u32_e64 v74, s[0:1], v23, v50, s[0:1]
	v_mov_b32_e32 v63, v58
	v_mad_u64_u32 v[58:59], s[0:1], s3, v31, v[28:29]
	v_lshlrev_b64 v[49:50], 2, v[62:63]
	v_add_u32_e32 v31, 0x930, v14
	v_add_co_u32_e64 v63, s[0:1], v19, v49
	v_mov_b32_e32 v68, v58
	v_addc_co_u32_e64 v64, s[0:1], v23, v50, s[0:1]
	v_lshlrev_b64 v[49:50], 2, v[67:68]
	v_mad_u64_u32 v[67:68], s[0:1], s2, v31, 0
	v_add_co_u32_e64 v75, s[0:1], v19, v49
	v_mov_b32_e32 v28, v68
	v_addc_co_u32_e64 v76, s[0:1], v23, v50, s[0:1]
	v_mad_u64_u32 v[58:59], s[0:1], s3, v31, v[28:29]
	global_load_dword v83, v[36:37], off
	global_load_dword v49, v[40:41], off
	;; [unrolled: 1-line block ×8, first 2 shown]
	v_mov_b32_e32 v31, v61
	v_mov_b32_e32 v68, v58
	v_lshlrev_b64 v[36:37], 2, v[67:68]
	v_lshrrev_b32_e32 v104, 16, v33
	v_add_co_u32_e64 v36, s[0:1], v19, v36
	v_addc_co_u32_e64 v37, s[0:1], v23, v37, s[0:1]
	global_load_dword v51, v[36:37], off
	v_mad_u64_u32 v[36:37], s[0:1], s3, v81, v[31:32]
	global_load_dword v93, v[38:39], off
	global_load_dword v87, v[52:53], off
	;; [unrolled: 1-line block ×4, first 2 shown]
	v_lshrrev_b32_e32 v95, 16, v35
	v_mov_b32_e32 v61, v36
	v_lshlrev_b64 v[36:37], 2, v[60:61]
	s_waitcnt vmcnt(25)
	v_lshrrev_b32_e32 v81, 16, v78
	v_add_co_u32_e64 v36, s[0:1], v19, v36
	v_addc_co_u32_e64 v37, s[0:1], v23, v37, s[0:1]
	global_load_dword v31, v[36:37], off
	s_mov_b32 s0, 0x5040100
	s_mov_b32 s1, 0x7060302
	v_lshrrev_b32_e32 v23, 16, v26
	s_waitcnt vmcnt(19)
	v_lshrrev_b32_e32 v63, 16, v80
	v_perm_b32 v90, v80, v79, s0
	s_waitcnt vmcnt(18)
	v_perm_b32 v92, v46, v79, s1
	v_perm_b32 v101, v78, v77, s0
	;; [unrolled: 1-line block ×8, first 2 shown]
	v_mov_b32_e32 v19, v15
	s_waitcnt vmcnt(13)
	v_lshrrev_b32_e32 v56, 16, v83
	v_perm_b32 v71, v83, v82, s0
	s_waitcnt vmcnt(12)
	v_perm_b32 v75, v49, v82, s1
	s_waitcnt vmcnt(6)
	v_lshrrev_b32_e32 v55, 16, v85
	v_perm_b32 v60, v85, v84, s0
	s_waitcnt vmcnt(5)
	v_perm_b32 v61, v51, v84, s1
	s_waitcnt vmcnt(4)
	v_perm_b32 v109, v93, v34, s1
.LBB0_13:
	s_or_b64 exec, exec, s[4:5]
	s_mov_b32 s6, 0x7060302
	s_mov_b32 s10, 0x5040100
	v_perm_b32 v32, v6, v21, s6
	v_perm_b32 v21, v10, v21, s10
	v_add_f16_e32 v33, v7, v6
	v_pk_add_f16 v35, v26, v21
	v_sub_f16_sdwa v34, v10, v23 dst_sel:DWORD dst_unused:UNUSED_PAD src0_sel:WORD_1 src1_sel:DWORD
	v_pk_add_f16 v52, v32, v27 neg_lo:[0,1] neg_hi:[0,1]
	v_add_f16_sdwa v53, v33, v35 dst_sel:DWORD dst_unused:UNUSED_PAD src0_sel:DWORD src1_sel:WORD_1
	v_sub_f16_e32 v54, v33, v35
	v_alignbit_b32 v33, v33, v35, 16
	v_pk_add_f16 v33, v35, v33 neg_lo:[0,1] neg_hi:[0,1]
	v_add_f16_e32 v57, v34, v52
	v_pack_b32_f16 v58, v34, v52
	s_mov_b32 s7, 0x39e02b26
	v_pk_add_f16 v58, v52, v58 neg_lo:[0,1] neg_hi:[0,1]
	v_sub_f16_sdwa v34, v34, v52 dst_sel:DWORD dst_unused:UNUSED_PAD src0_sel:DWORD src1_sel:WORD_1
	v_add_f16_sdwa v52, v52, v57 dst_sel:DWORD dst_unused:UNUSED_PAD src0_sel:WORD_1 src1_sel:DWORD
	v_mul_f16_e32 v57, 0xba52, v54
	v_pk_mul_f16 v64, v33, s7
	v_add_f16_e32 v35, v53, v35
	v_alignbit_b32 v57, v57, v64, 16
	s_mov_b32 s5, 0xb5743846
	v_add_f16_e32 v53, v35, v5
	s_movk_i32 s1, 0x3a52
	v_pk_fma_f16 v33, v33, s7, v57 neg_lo:[1,0,0] neg_hi:[1,0,0]
	v_pk_mul_f16 v57, v58, s5
	v_mul_f16_e32 v34, 0xbb00, v34
	s_mov_b32 s4, 0xbcab
	s_mov_b32 s0, 0xb70e
	v_fma_f16 v54, v54, s1, v64
	v_mul_f16_e32 v64, 0xb70e, v52
	v_fma_f16 v35, v35, s4, v53
	v_add_f16_sdwa v57, v57, v57 dst_sel:DWORD dst_unused:UNUSED_PAD src0_sel:WORD_1 src1_sel:DWORD
	v_pk_fma_f16 v34, v58, s5, v34 op_sel_hi:[1,1,0] neg_lo:[1,0,0] neg_hi:[1,0,1]
	v_add_f16_e32 v54, v54, v35
	v_pk_add_f16 v33, v33, v35 op_sel_hi:[1,0]
	v_fma_f16 v35, v52, s0, v57
	v_pk_add_f16 v34, v34, v64 op_sel_hi:[1,0]
	v_add_f16_e32 v52, v54, v35
	v_pk_add_f16 v57, v33, v34
	v_pk_add_f16 v33, v33, v34 neg_lo:[0,1] neg_hi:[0,1]
	s_mov_b32 s11, 0xffff
	v_perm_b32 v117, v8, v25, s10
	v_add_f16_e32 v36, v2, v3
	v_mad_u32_u24 v113, v14, 14, 0
	v_sub_f16_e32 v54, v54, v35
	v_bfi_b32 v35, s11, v57, v33
	v_alignbit_b32 v34, v33, v57, 16
	v_pack_b32_f16 v33, v53, v52
	v_perm_b32 v116, v3, v25, s6
	v_pk_add_f16 v25, v111, v117
	ds_write_b96 v113, v[33:35]
	ds_write_b16 v113, v54 offset:12
	v_add_f16_sdwa v34, v36, v25 dst_sel:DWORD dst_unused:UNUSED_PAD src0_sel:DWORD src1_sel:WORD_1
	v_sub_f16_e32 v35, v36, v25
	v_alignbit_b32 v36, v36, v25, 16
	v_sub_f16_sdwa v37, v8, v104 dst_sel:DWORD dst_unused:UNUSED_PAD src0_sel:WORD_1 src1_sel:DWORD
	v_pk_add_f16 v33, v116, v112 neg_lo:[0,1] neg_hi:[0,1]
	v_pk_add_f16 v36, v25, v36 neg_lo:[0,1] neg_hi:[0,1]
	v_pack_b32_f16 v53, v37, v33
	v_add_f16_e32 v25, v34, v25
	v_mul_f16_e32 v34, 0xba52, v35
	v_pk_mul_f16 v54, v36, s7
	v_add_f16_e32 v52, v37, v33
	v_pk_add_f16 v53, v33, v53 neg_lo:[0,1] neg_hi:[0,1]
	v_sub_f16_sdwa v37, v37, v33 dst_sel:DWORD dst_unused:UNUSED_PAD src0_sel:DWORD src1_sel:WORD_1
	v_alignbit_b32 v34, v34, v54, 16
	v_add_f16_sdwa v33, v33, v52 dst_sel:DWORD dst_unused:UNUSED_PAD src0_sel:WORD_1 src1_sel:DWORD
	v_add_f16_e32 v52, v25, v0
	v_pk_fma_f16 v34, v36, s7, v34 neg_lo:[1,0,0] neg_hi:[1,0,0]
	v_pk_mul_f16 v36, v53, s5
	v_mul_f16_e32 v37, 0xbb00, v37
	v_fma_f16 v35, v35, s1, v54
	v_mul_f16_e32 v54, 0xb70e, v33
	v_fma_f16 v25, v25, s4, v52
	v_add_f16_sdwa v36, v36, v36 dst_sel:DWORD dst_unused:UNUSED_PAD src0_sel:WORD_1 src1_sel:DWORD
	v_pk_fma_f16 v37, v53, s5, v37 op_sel_hi:[1,1,0] neg_lo:[1,0,0] neg_hi:[1,0,1]
	v_add_f16_e32 v35, v35, v25
	v_pk_add_f16 v25, v34, v25 op_sel_hi:[1,0]
	v_fma_f16 v33, v33, s0, v36
	v_pk_add_f16 v34, v37, v54 op_sel_hi:[1,0]
	v_add_f16_e32 v36, v35, v33
	v_pk_add_f16 v37, v25, v34
	v_pk_add_f16 v25, v25, v34 neg_lo:[0,1] neg_hi:[0,1]
	v_perm_b32 v119, v9, v24, s10
	v_add_f16_e32 v38, v93, v4
	v_mad_i32_i24 v114, v19, 14, 0
	v_sub_f16_e32 v53, v35, v33
	v_bfi_b32 v35, s11, v37, v25
	v_alignbit_b32 v34, v25, v37, 16
	v_pack_b32_f16 v33, v52, v36
	v_perm_b32 v118, v4, v24, s6
	v_pk_add_f16 v24, v108, v119
	v_sub_f16_sdwa v39, v9, v95 dst_sel:DWORD dst_unused:UNUSED_PAD src0_sel:WORD_1 src1_sel:DWORD
	ds_write_b96 v114, v[33:35]
	ds_write_b16 v114, v53 offset:12
	v_pk_add_f16 v25, v118, v109 neg_lo:[0,1] neg_hi:[0,1]
	v_alignbit_b32 v35, v38, v24, 16
	v_sub_f16_e32 v34, v38, v24
	v_pk_add_f16 v35, v24, v35 neg_lo:[0,1] neg_hi:[0,1]
	v_add_f16_e32 v36, v39, v25
	v_pack_b32_f16 v37, v39, v25
	v_add_f16_sdwa v33, v38, v24 dst_sel:DWORD dst_unused:UNUSED_PAD src0_sel:DWORD src1_sel:WORD_1
	v_pk_add_f16 v37, v25, v37 neg_lo:[0,1] neg_hi:[0,1]
	v_sub_f16_sdwa v38, v39, v25 dst_sel:DWORD dst_unused:UNUSED_PAD src0_sel:DWORD src1_sel:WORD_1
	v_add_f16_sdwa v25, v25, v36 dst_sel:DWORD dst_unused:UNUSED_PAD src0_sel:WORD_1 src1_sel:DWORD
	v_mul_f16_e32 v36, 0xba52, v34
	v_pk_mul_f16 v39, v35, s7
	v_add_f16_e32 v24, v33, v24
	v_alignbit_b32 v36, v36, v39, 16
	v_add_f16_e32 v33, v24, v1
	v_pk_fma_f16 v35, v35, s7, v36 neg_lo:[1,0,0] neg_hi:[1,0,0]
	v_pk_mul_f16 v36, v37, s5
	v_mul_f16_e32 v38, 0xbb00, v38
	v_fma_f16 v34, v34, s1, v39
	v_mul_f16_e32 v39, 0xb70e, v25
	v_fma_f16 v24, v24, s4, v33
	v_add_f16_sdwa v36, v36, v36 dst_sel:DWORD dst_unused:UNUSED_PAD src0_sel:WORD_1 src1_sel:DWORD
	v_pk_fma_f16 v37, v37, s5, v38 op_sel_hi:[1,1,0] neg_lo:[1,0,0] neg_hi:[1,0,1]
	v_add_f16_e32 v38, v34, v24
	v_pk_add_f16 v24, v35, v24 op_sel_hi:[1,0]
	v_fma_f16 v25, v25, s0, v36
	v_pk_add_f16 v34, v37, v39 op_sel_hi:[1,0]
	v_add_f16_e32 v36, v38, v25
	v_pk_add_f16 v37, v24, v34
	v_pk_add_f16 v24, v24, v34 neg_lo:[0,1] neg_hi:[0,1]
	s_waitcnt vmcnt(1)
	v_perm_b32 v121, v100, v29, s10
	v_add_f16_e32 v40, v42, v94
	v_mad_i32_i24 v115, v16, 14, 0
	v_bfi_b32 v35, s11, v37, v24
	v_alignbit_b32 v34, v24, v37, 16
	v_pack_b32_f16 v33, v33, v36
	v_pk_add_f16 v24, v101, v121
	ds_write_b96 v115, v[33:35]
	v_perm_b32 v120, v94, v29, s6
	v_alignbit_b32 v34, v40, v24, 16
	v_sub_f16_sdwa v41, v100, v81 dst_sel:DWORD dst_unused:UNUSED_PAD src0_sel:WORD_1 src1_sel:DWORD
	v_pk_add_f16 v29, v120, v103 neg_lo:[0,1] neg_hi:[0,1]
	v_add_f16_sdwa v33, v40, v24 dst_sel:DWORD dst_unused:UNUSED_PAD src0_sel:DWORD src1_sel:WORD_1
	v_sub_f16_e32 v36, v40, v24
	v_pk_add_f16 v34, v24, v34 neg_lo:[0,1] neg_hi:[0,1]
	v_add_f16_e32 v35, v41, v29
	v_pack_b32_f16 v37, v41, v29
	v_sub_f16_sdwa v39, v41, v29 dst_sel:DWORD dst_unused:UNUSED_PAD src0_sel:DWORD src1_sel:WORD_1
	v_add_f16_e32 v24, v33, v24
	v_mul_f16_e32 v33, 0xba52, v36
	v_pk_mul_f16 v40, v34, s7
	v_pk_add_f16 v37, v29, v37 neg_lo:[0,1] neg_hi:[0,1]
	v_add_f16_sdwa v29, v29, v35 dst_sel:DWORD dst_unused:UNUSED_PAD src0_sel:WORD_1 src1_sel:DWORD
	v_alignbit_b32 v33, v33, v40, 16
	v_mul_f16_e32 v35, 0xbb00, v39
	v_add_f16_e32 v39, v24, v87
	v_pk_fma_f16 v33, v34, s7, v33 neg_lo:[1,0,0] neg_hi:[1,0,0]
	v_mul_f16_e32 v34, 0xb70e, v29
	v_pk_fma_f16 v35, v37, s5, v35 op_sel_hi:[1,1,0] neg_lo:[1,0,0] neg_hi:[1,0,1]
	v_fma_f16 v24, v24, s4, v39
	v_pk_add_f16 v34, v35, v34 op_sel_hi:[1,0]
	v_pk_add_f16 v33, v33, v24 op_sel_hi:[1,0]
	v_pk_add_f16 v41, v33, v34
	v_pk_add_f16 v33, v33, v34 neg_lo:[0,1] neg_hi:[0,1]
	v_bfi_b32 v35, s11, v41, v33
	v_alignbit_b32 v34, v33, v41, 16
	v_fma_f16 v33, v36, s1, v40
	v_add_f16_e32 v24, v33, v24
	v_pk_mul_f16 v33, v37, s5
	v_add_f16_sdwa v33, v33, v33 dst_sel:DWORD dst_unused:UNUSED_PAD src0_sel:WORD_1 src1_sel:DWORD
	v_fma_f16 v29, v29, s0, v33
	v_sub_f16_e32 v25, v38, v25
	v_add_f16_e32 v33, v24, v29
	v_perm_b32 v124, v44, v30, s10
	ds_write_b16 v115, v25 offset:12
	v_add_f16_e32 v25, v46, v43
	v_mad_i32_i24 v122, v17, 14, 0
	v_pack_b32_f16 v33, v39, v33
	v_perm_b32 v123, v43, v30, s6
	v_pk_add_f16 v30, v90, v124
	v_sub_f16_sdwa v36, v44, v63 dst_sel:DWORD dst_unused:UNUSED_PAD src0_sel:WORD_1 src1_sel:DWORD
	ds_write_b96 v122, v[33:35]
	v_pk_add_f16 v33, v123, v92 neg_lo:[0,1] neg_hi:[0,1]
	v_add_f16_sdwa v34, v25, v30 dst_sel:DWORD dst_unused:UNUSED_PAD src0_sel:DWORD src1_sel:WORD_1
	v_sub_f16_e32 v37, v25, v30
	v_alignbit_b32 v25, v25, v30, 16
	v_pk_add_f16 v25, v30, v25 neg_lo:[0,1] neg_hi:[0,1]
	v_add_f16_e32 v30, v34, v30
	v_pack_b32_f16 v34, v36, v33
	v_pk_add_f16 v38, v33, v34 neg_lo:[0,1] neg_hi:[0,1]
	v_add_f16_e32 v34, v36, v33
	v_sub_f16_sdwa v35, v36, v33 dst_sel:DWORD dst_unused:UNUSED_PAD src0_sel:DWORD src1_sel:WORD_1
	v_add_f16_sdwa v33, v33, v34 dst_sel:DWORD dst_unused:UNUSED_PAD src0_sel:WORD_1 src1_sel:DWORD
	v_mul_f16_e32 v34, 0xba52, v37
	v_pk_mul_f16 v36, v25, s7
	v_alignbit_b32 v34, v34, v36, 16
	v_pk_fma_f16 v25, v25, s7, v34 neg_lo:[1,0,0] neg_hi:[1,0,0]
	v_mul_f16_e32 v34, 0xbb00, v35
	v_add_f16_e32 v39, v30, v11
	v_sub_f16_e32 v24, v24, v29
	v_pk_mul_f16 v29, v38, s5
	v_pk_fma_f16 v34, v38, s5, v34 op_sel_hi:[1,1,0] neg_lo:[1,0,0] neg_hi:[1,0,1]
	v_mul_f16_e32 v35, 0xb70e, v33
	v_fma_f16 v30, v30, s4, v39
	ds_write_b16 v122, v24 offset:12
	v_fma_f16 v24, v37, s1, v36
	v_add_f16_sdwa v29, v29, v29 dst_sel:DWORD dst_unused:UNUSED_PAD src0_sel:WORD_1 src1_sel:DWORD
	v_pk_add_f16 v34, v34, v35 op_sel_hi:[1,0]
	v_pk_add_f16 v25, v25, v30 op_sel_hi:[1,0]
	v_add_f16_e32 v24, v24, v30
	v_fma_f16 v36, v33, s0, v29
	v_pk_add_f16 v40, v25, v34
	v_pk_add_f16 v25, v25, v34 neg_lo:[0,1] neg_hi:[0,1]
	v_add_f16_e32 v29, v24, v36
	s_waitcnt vmcnt(0)
	v_perm_b32 v126, v48, v31, s10
	v_bfi_b32 v35, s11, v40, v25
	v_alignbit_b32 v34, v25, v40, 16
	v_add_f16_e32 v25, v49, v47
	v_pack_b32_f16 v33, v39, v29
	v_mad_i32_i24 v125, v18, 14, 0
	v_pk_add_f16 v29, v71, v126
	ds_write_b96 v125, v[33:35]
	v_add_f16_sdwa v30, v25, v29 dst_sel:DWORD dst_unused:UNUSED_PAD src0_sel:DWORD src1_sel:WORD_1
	v_sub_f16_e32 v33, v25, v29
	v_alignbit_b32 v25, v25, v29, 16
	v_perm_b32 v128, v47, v31, s6
	v_pk_add_f16 v25, v29, v25 neg_lo:[0,1] neg_hi:[0,1]
	v_add_f16_e32 v29, v30, v29
	v_sub_f16_sdwa v30, v48, v56 dst_sel:DWORD dst_unused:UNUSED_PAD src0_sel:WORD_1 src1_sel:DWORD
	v_pk_add_f16 v31, v128, v75 neg_lo:[0,1] neg_hi:[0,1]
	v_pack_b32_f16 v34, v30, v31
	v_add_f16_e32 v35, v30, v31
	v_pk_add_f16 v34, v31, v34 neg_lo:[0,1] neg_hi:[0,1]
	v_sub_f16_sdwa v30, v30, v31 dst_sel:DWORD dst_unused:UNUSED_PAD src0_sel:DWORD src1_sel:WORD_1
	v_add_f16_sdwa v35, v31, v35 dst_sel:DWORD dst_unused:UNUSED_PAD src0_sel:WORD_1 src1_sel:DWORD
	v_mul_f16_e32 v31, 0xba52, v33
	v_pk_mul_f16 v37, v25, s7
	v_alignbit_b32 v31, v31, v37, 16
	v_mul_f16_e32 v30, 0xbb00, v30
	v_add_f16_e32 v38, v29, v45
	v_pk_fma_f16 v25, v25, s7, v31 neg_lo:[1,0,0] neg_hi:[1,0,0]
	v_pk_fma_f16 v30, v34, s5, v30 op_sel_hi:[1,1,0] neg_lo:[1,0,0] neg_hi:[1,0,1]
	v_mul_f16_e32 v31, 0xb70e, v35
	v_fma_f16 v29, v29, s4, v38
	v_pk_add_f16 v30, v30, v31 op_sel_hi:[1,0]
	v_pk_add_f16 v25, v25, v29 op_sel_hi:[1,0]
	v_pk_add_f16 v39, v25, v30
	v_pk_add_f16 v25, v25, v30 neg_lo:[0,1] neg_hi:[0,1]
	v_bfi_b32 v31, s11, v39, v25
	v_alignbit_b32 v30, v25, v39, 16
	v_fma_f16 v25, v33, s1, v37
	v_add_f16_e32 v25, v25, v29
	v_pk_mul_f16 v29, v34, s5
	v_add_f16_sdwa v29, v29, v29 dst_sel:DWORD dst_unused:UNUSED_PAD src0_sel:WORD_1 src1_sel:DWORD
	v_fma_f16 v33, v35, s0, v29
	v_add_f16_e32 v29, v25, v33
	v_pack_b32_f16 v29, v38, v29
	v_sub_f16_e32 v24, v24, v36
	v_mad_i32_i24 v127, v20, 14, 0
	v_perm_b32 v129, v62, v28, s10
	ds_write_b16 v125, v24 offset:12
	ds_write_b96 v127, v[29:31]
	v_add_f16_e32 v24, v51, v59
	v_pk_add_f16 v29, v60, v129
	v_add_f16_sdwa v30, v24, v29 dst_sel:DWORD dst_unused:UNUSED_PAD src0_sel:DWORD src1_sel:WORD_1
	v_sub_f16_e32 v31, v24, v29
	v_alignbit_b32 v24, v24, v29, 16
	v_perm_b32 v130, v59, v28, s6
	v_pk_add_f16 v24, v29, v24 neg_lo:[0,1] neg_hi:[0,1]
	v_add_f16_e32 v29, v30, v29
	v_sub_f16_sdwa v28, v62, v55 dst_sel:DWORD dst_unused:UNUSED_PAD src0_sel:WORD_1 src1_sel:DWORD
	v_pk_add_f16 v30, v130, v61 neg_lo:[0,1] neg_hi:[0,1]
	v_pack_b32_f16 v34, v28, v30
	v_add_f16_e32 v35, v28, v30
	v_pk_add_f16 v34, v30, v34 neg_lo:[0,1] neg_hi:[0,1]
	v_sub_f16_sdwa v28, v28, v30 dst_sel:DWORD dst_unused:UNUSED_PAD src0_sel:DWORD src1_sel:WORD_1
	v_add_f16_sdwa v35, v30, v35 dst_sel:DWORD dst_unused:UNUSED_PAD src0_sel:WORD_1 src1_sel:DWORD
	v_pk_mul_f16 v36, v24, s7
	v_mul_f16_e32 v30, 0xba52, v31
	v_alignbit_b32 v30, v30, v36, 16
	v_mul_f16_e32 v28, 0xbb00, v28
	v_add_f16_e32 v37, v29, v50
	v_sub_f16_e32 v6, v6, v7
	v_add_f16_sdwa v7, v23, v10 dst_sel:DWORD dst_unused:UNUSED_PAD src0_sel:DWORD src1_sel:WORD_1
	v_pk_add_f16 v10, v27, v32
	v_pk_fma_f16 v24, v24, s7, v30 neg_lo:[1,0,0] neg_hi:[1,0,0]
	v_pk_fma_f16 v28, v34, s5, v28 op_sel_hi:[1,1,0] neg_lo:[1,0,0] neg_hi:[1,0,1]
	v_mul_f16_e32 v30, 0xb70e, v35
	v_fma_f16 v38, v29, s4, v37
	v_add_f16_sdwa v23, v10, v7 dst_sel:DWORD dst_unused:UNUSED_PAD src0_sel:WORD_1 src1_sel:DWORD
	v_pk_add_f16 v28, v28, v30 op_sel_hi:[1,0]
	v_pk_add_f16 v24, v24, v38 op_sel_hi:[1,0]
	v_pk_add_f16 v21, v21, v26 neg_lo:[0,1] neg_hi:[0,1]
	v_sub_f16_sdwa v26, v7, v10 dst_sel:DWORD dst_unused:UNUSED_PAD src0_sel:DWORD src1_sel:WORD_1
	v_sub_f16_e32 v7, v10, v7
	v_add_f16_e32 v23, v23, v10
	v_sub_f16_sdwa v10, v10, v10 dst_sel:DWORD dst_unused:UNUSED_PAD src0_sel:WORD_1 src1_sel:DWORD
	v_pk_add_f16 v29, v24, v28
	v_pk_add_f16 v24, v24, v28 neg_lo:[0,1] neg_hi:[0,1]
	v_pk_mul_f16 v28, v34, s5
	v_mul_f16_e32 v7, 0x2b26, v7
	v_mul_f16_e32 v27, 0x3a52, v10
	s_movk_i32 s5, 0x39e0
	s_mov_b32 s7, 0xb9e0
	v_fma_f16 v10, v10, s1, v7
	v_fma_f16 v7, v26, s5, -v7
	v_fma_f16 v26, v26, s7, -v27
	v_add_f16_sdwa v27, v21, v21 dst_sel:DWORD dst_unused:UNUSED_PAD src0_sel:WORD_1 src1_sel:DWORD
	v_add_f16_e32 v27, v6, v27
	v_sub_f16_e32 v32, v6, v21
	v_sub_f16_sdwa v6, v21, v6 dst_sel:DWORD dst_unused:UNUSED_PAD src0_sel:WORD_1 src1_sel:DWORD
	v_sub_f16_sdwa v21, v21, v21 dst_sel:DWORD dst_unused:UNUSED_PAD src0_sel:DWORD src1_sel:WORD_1
	v_bfi_b32 v30, s11, v29, v24
	v_mul_f16_e32 v21, 0x3846, v21
	s_mov_b32 s6, 0xbb00
	s_mov_b32 s11, 0xb574
	v_mul_f16_e32 v34, 0xbb00, v6
	s_movk_i32 s10, 0x3574
	v_add_f16_sdwa v5, v23, v5 dst_sel:DWORD dst_unused:UNUSED_PAD src0_sel:DWORD src1_sel:WORD_1
	v_alignbit_b32 v29, v24, v29, 16
	v_fma_f16 v24, v31, s1, v36
	v_add_f16_sdwa v28, v28, v28 dst_sel:DWORD dst_unused:UNUSED_PAD src0_sel:WORD_1 src1_sel:DWORD
	v_fma_f16 v6, v6, s6, -v21
	v_fma_f16 v21, v32, s11, v21
	v_fma_f16 v32, v32, s10, -v34
	v_fma_f16 v23, v23, s4, v5
	v_add_f16_e32 v24, v24, v38
	v_fma_f16 v31, v35, s0, v28
	v_add_f16_e32 v10, v10, v23
	v_add_f16_e32 v7, v7, v23
	;; [unrolled: 1-line block ×3, first 2 shown]
	v_fma_f16 v131, v27, s0, v21
	v_fma_f16 v6, v27, s0, v6
	v_fma_f16 v21, v27, s0, v32
	v_add_f16_e32 v28, v24, v31
	v_add_f16_e32 v26, v6, v7
	v_sub_f16_e32 v6, v7, v6
	v_sub_f16_e32 v27, v23, v21
	v_add_f16_e32 v7, v21, v23
	v_sub_f16_e32 v21, v25, v33
	v_pack_b32_f16 v28, v37, v28
	ds_write_b16 v127, v21 offset:12
	v_sub_f16_e32 v32, v10, v131
	v_sub_f16_e32 v21, v24, v31
	v_mad_i32_i24 v23, v22, 14, 0
	ds_write_b96 v23, v[28:30]
	ds_write_b16 v23, v21 offset:12
	v_lshl_add_u32 v21, v14, 1, 0
	v_pack_b32_f16 v7, v6, v7
	v_pack_b32_f16 v6, v27, v26
	;; [unrolled: 1-line block ×3, first 2 shown]
	v_lshl_add_u32 v26, v17, 1, 0
	v_mad_i32_i24 v29, v22, -12, v23
	s_waitcnt lgkmcnt(0)
	; wave barrier
	s_waitcnt lgkmcnt(0)
	v_lshl_add_u32 v24, v19, 1, 0
	v_lshl_add_u32 v25, v16, 1, 0
	ds_read_u16 v54, v21 offset:3626
	ds_read_u16 v53, v21 offset:4312
	;; [unrolled: 1-line block ×3, first 2 shown]
	v_lshl_add_u32 v27, v18, 1, 0
	v_lshl_add_u32 v28, v20, 1, 0
	ds_read_u16 v33, v26
	ds_read_u16 v32, v27
	;; [unrolled: 1-line block ×3, first 2 shown]
	ds_read_u16 v105, v21 offset:1372
	ds_read_u16 v96, v21 offset:1470
	;; [unrolled: 1-line block ×20, first 2 shown]
	ds_read_u16 v30, v29
	ds_read_u16 v36, v21
	ds_read_u16 v110, v21 offset:686
	ds_read_u16 v102, v21 offset:784
	;; [unrolled: 1-line block ×18, first 2 shown]
	ds_read_u16 v34, v25
	ds_read_u16 v35, v24
	ds_read_u16 v40, v21 offset:4704
	s_waitcnt lgkmcnt(0)
	; wave barrier
	s_waitcnt lgkmcnt(0)
	ds_write_b96 v113, v[5:7]
	v_add_f16_e32 v5, v131, v10
	ds_write_b16 v113, v5 offset:12
	v_sub_f16_e32 v2, v3, v2
	v_add_f16_sdwa v3, v104, v8 dst_sel:DWORD dst_unused:UNUSED_PAD src0_sel:DWORD src1_sel:WORD_1
	v_pk_add_f16 v5, v112, v116
	v_pk_add_f16 v6, v117, v111 neg_lo:[0,1] neg_hi:[0,1]
	v_add_f16_sdwa v7, v5, v3 dst_sel:DWORD dst_unused:UNUSED_PAD src0_sel:WORD_1 src1_sel:DWORD
	v_add_f16_sdwa v10, v6, v6 dst_sel:DWORD dst_unused:UNUSED_PAD src0_sel:WORD_1 src1_sel:DWORD
	v_sub_f16_sdwa v8, v3, v5 dst_sel:DWORD dst_unused:UNUSED_PAD src0_sel:DWORD src1_sel:WORD_1
	v_sub_f16_e32 v3, v5, v3
	v_add_f16_e32 v7, v7, v5
	v_sub_f16_sdwa v5, v5, v5 dst_sel:DWORD dst_unused:UNUSED_PAD src0_sel:WORD_1 src1_sel:DWORD
	v_add_f16_e32 v10, v2, v10
	v_sub_f16_e32 v104, v2, v6
	v_sub_f16_sdwa v2, v6, v2 dst_sel:DWORD dst_unused:UNUSED_PAD src0_sel:WORD_1 src1_sel:DWORD
	v_sub_f16_sdwa v6, v6, v6 dst_sel:DWORD dst_unused:UNUSED_PAD src0_sel:DWORD src1_sel:WORD_1
	v_add_f16_sdwa v0, v7, v0 dst_sel:DWORD dst_unused:UNUSED_PAD src0_sel:DWORD src1_sel:WORD_1
	v_mul_f16_e32 v3, 0x2b26, v3
	v_mul_f16_e32 v111, 0x3846, v6
	;; [unrolled: 1-line block ×3, first 2 shown]
	v_fma_f16 v112, v7, s4, v0
	v_fma_f16 v6, v8, s7, -v6
	v_fma_f16 v7, v8, s5, -v3
	;; [unrolled: 1-line block ×3, first 2 shown]
	v_mul_f16_e32 v2, 0xbb00, v2
	v_fma_f16 v2, v104, s10, -v2
	v_add_f16_e32 v7, v7, v112
	v_fma_f16 v8, v10, s0, v8
	v_add_f16_e32 v6, v6, v112
	v_fma_f16 v2, v10, s0, v2
	v_add_f16_e32 v113, v8, v7
	v_sub_f16_e32 v7, v7, v8
	v_sub_f16_e32 v8, v6, v2
	v_add_f16_e32 v2, v2, v6
	v_pack_b32_f16 v7, v7, v2
	v_fma_f16 v2, v5, s1, v3
	v_fma_f16 v3, v104, s11, v111
	v_add_f16_e32 v2, v2, v112
	v_fma_f16 v3, v10, s0, v3
	v_sub_f16_e32 v5, v2, v3
	v_pack_b32_f16 v5, v0, v5
	v_add_f16_e32 v0, v3, v2
	v_pack_b32_f16 v6, v8, v113
	ds_write_b16 v114, v0 offset:12
	v_sub_f16_e32 v0, v4, v93
	v_add_f16_sdwa v2, v95, v9 dst_sel:DWORD dst_unused:UNUSED_PAD src0_sel:DWORD src1_sel:WORD_1
	v_pk_add_f16 v3, v109, v118
	v_pk_add_f16 v4, v119, v108 neg_lo:[0,1] neg_hi:[0,1]
	ds_write_b96 v114, v[5:7]
	v_add_f16_sdwa v5, v3, v2 dst_sel:DWORD dst_unused:UNUSED_PAD src0_sel:WORD_1 src1_sel:DWORD
	v_add_f16_sdwa v7, v4, v4 dst_sel:DWORD dst_unused:UNUSED_PAD src0_sel:WORD_1 src1_sel:DWORD
	v_sub_f16_sdwa v6, v2, v3 dst_sel:DWORD dst_unused:UNUSED_PAD src0_sel:DWORD src1_sel:WORD_1
	v_sub_f16_e32 v2, v3, v2
	v_add_f16_e32 v5, v5, v3
	v_sub_f16_sdwa v3, v3, v3 dst_sel:DWORD dst_unused:UNUSED_PAD src0_sel:WORD_1 src1_sel:DWORD
	v_add_f16_e32 v7, v0, v7
	v_sub_f16_e32 v8, v0, v4
	v_sub_f16_sdwa v0, v4, v0 dst_sel:DWORD dst_unused:UNUSED_PAD src0_sel:WORD_1 src1_sel:DWORD
	v_sub_f16_sdwa v4, v4, v4 dst_sel:DWORD dst_unused:UNUSED_PAD src0_sel:DWORD src1_sel:WORD_1
	v_add_f16_sdwa v9, v5, v1 dst_sel:DWORD dst_unused:UNUSED_PAD src0_sel:DWORD src1_sel:WORD_1
	v_mul_f16_e32 v10, 0x2b26, v2
	v_mul_f16_e32 v4, 0x3846, v4
	;; [unrolled: 1-line block ×3, first 2 shown]
	v_fma_f16 v1, v6, s7, -v1
	v_fma_f16 v2, v6, s5, -v10
	;; [unrolled: 1-line block ×3, first 2 shown]
	v_mul_f16_e32 v0, 0xbb00, v0
	v_fma_f16 v5, v5, s4, v9
	v_fma_f16 v0, v8, s10, -v0
	v_add_f16_e32 v2, v2, v5
	v_fma_f16 v6, v7, s0, v6
	v_add_f16_e32 v1, v1, v5
	v_fma_f16 v0, v7, s0, v0
	v_add_f16_e32 v93, v6, v2
	v_sub_f16_e32 v2, v2, v6
	v_sub_f16_e32 v6, v1, v0
	v_add_f16_e32 v0, v0, v1
	v_pack_b32_f16 v2, v2, v0
	v_fma_f16 v0, v3, s1, v10
	v_fma_f16 v3, v8, s11, v4
	v_add_f16_e32 v4, v0, v5
	v_fma_f16 v3, v7, s0, v3
	v_sub_f16_e32 v0, v4, v3
	v_pack_b32_f16 v1, v6, v93
	v_pack_b32_f16 v0, v9, v0
	ds_write_b96 v115, v[0:2]
	v_add_f16_sdwa v1, v81, v100 dst_sel:DWORD dst_unused:UNUSED_PAD src0_sel:DWORD src1_sel:WORD_1
	v_pk_add_f16 v2, v103, v120
	v_add_f16_e32 v0, v3, v4
	v_pk_add_f16 v3, v121, v101 neg_lo:[0,1] neg_hi:[0,1]
	v_add_f16_sdwa v4, v2, v1 dst_sel:DWORD dst_unused:UNUSED_PAD src0_sel:WORD_1 src1_sel:DWORD
	ds_write_b16 v115, v0 offset:12
	v_sub_f16_e32 v0, v94, v42
	v_sub_f16_sdwa v5, v1, v2 dst_sel:DWORD dst_unused:UNUSED_PAD src0_sel:DWORD src1_sel:WORD_1
	v_sub_f16_e32 v1, v2, v1
	v_add_f16_e32 v4, v4, v2
	v_sub_f16_sdwa v6, v2, v2 dst_sel:DWORD dst_unused:UNUSED_PAD src0_sel:WORD_1 src1_sel:DWORD
	v_add_f16_sdwa v2, v3, v3 dst_sel:DWORD dst_unused:UNUSED_PAD src0_sel:WORD_1 src1_sel:DWORD
	v_add_f16_e32 v7, v0, v2
	v_sub_f16_sdwa v2, v3, v3 dst_sel:DWORD dst_unused:UNUSED_PAD src0_sel:DWORD src1_sel:WORD_1
	v_sub_f16_e32 v8, v0, v3
	v_sub_f16_sdwa v0, v3, v0 dst_sel:DWORD dst_unused:UNUSED_PAD src0_sel:WORD_1 src1_sel:DWORD
	v_mul_f16_e32 v9, 0x2b26, v1
	v_mul_f16_e32 v10, 0x3846, v2
	v_mul_f16_e32 v1, 0x3a52, v6
	v_add_f16_sdwa v3, v4, v87 dst_sel:DWORD dst_unused:UNUSED_PAD src0_sel:DWORD src1_sel:WORD_1
	v_fma_f16 v1, v5, s7, -v1
	v_fma_f16 v2, v5, s5, -v9
	;; [unrolled: 1-line block ×3, first 2 shown]
	v_mul_f16_e32 v0, 0xbb00, v0
	v_fma_f16 v4, v4, s4, v3
	v_fma_f16 v0, v8, s10, -v0
	v_add_f16_e32 v2, v2, v4
	v_fma_f16 v5, v7, s0, v5
	v_add_f16_e32 v1, v1, v4
	v_fma_f16 v0, v7, s0, v0
	v_add_f16_e32 v42, v5, v2
	v_sub_f16_e32 v2, v2, v5
	v_sub_f16_e32 v5, v1, v0
	v_add_f16_e32 v0, v0, v1
	v_pack_b32_f16 v2, v2, v0
	v_pack_b32_f16 v1, v5, v42
	v_fma_f16 v0, v6, s1, v9
	v_fma_f16 v5, v8, s11, v10
	v_add_f16_e32 v4, v0, v4
	v_fma_f16 v5, v7, s0, v5
	v_sub_f16_e32 v0, v4, v5
	v_pack_b32_f16 v0, v3, v0
	ds_write_b96 v122, v[0:2]
	v_add_f16_sdwa v1, v63, v44 dst_sel:DWORD dst_unused:UNUSED_PAD src0_sel:DWORD src1_sel:WORD_1
	v_pk_add_f16 v2, v92, v123
	v_add_f16_e32 v0, v5, v4
	v_pk_add_f16 v3, v124, v90 neg_lo:[0,1] neg_hi:[0,1]
	v_add_f16_sdwa v4, v2, v1 dst_sel:DWORD dst_unused:UNUSED_PAD src0_sel:WORD_1 src1_sel:DWORD
	ds_write_b16 v122, v0 offset:12
	v_sub_f16_e32 v0, v43, v46
	v_sub_f16_sdwa v5, v1, v2 dst_sel:DWORD dst_unused:UNUSED_PAD src0_sel:DWORD src1_sel:WORD_1
	v_sub_f16_e32 v1, v2, v1
	v_add_f16_e32 v4, v4, v2
	v_sub_f16_sdwa v6, v2, v2 dst_sel:DWORD dst_unused:UNUSED_PAD src0_sel:WORD_1 src1_sel:DWORD
	v_add_f16_sdwa v2, v3, v3 dst_sel:DWORD dst_unused:UNUSED_PAD src0_sel:WORD_1 src1_sel:DWORD
	v_add_f16_e32 v7, v0, v2
	v_sub_f16_sdwa v2, v3, v3 dst_sel:DWORD dst_unused:UNUSED_PAD src0_sel:DWORD src1_sel:WORD_1
	v_sub_f16_e32 v8, v0, v3
	v_sub_f16_sdwa v0, v3, v0 dst_sel:DWORD dst_unused:UNUSED_PAD src0_sel:WORD_1 src1_sel:DWORD
	v_mul_f16_e32 v9, 0x2b26, v1
	v_mul_f16_e32 v10, 0x3846, v2
	;; [unrolled: 1-line block ×3, first 2 shown]
	v_add_f16_sdwa v3, v4, v11 dst_sel:DWORD dst_unused:UNUSED_PAD src0_sel:DWORD src1_sel:WORD_1
	v_fma_f16 v1, v5, s7, -v1
	v_fma_f16 v2, v5, s5, -v9
	;; [unrolled: 1-line block ×3, first 2 shown]
	v_mul_f16_e32 v0, 0xbb00, v0
	v_fma_f16 v4, v4, s4, v3
	v_fma_f16 v0, v8, s10, -v0
	v_add_f16_e32 v2, v2, v4
	v_fma_f16 v5, v7, s0, v5
	v_add_f16_e32 v1, v1, v4
	v_fma_f16 v0, v7, s0, v0
	v_add_f16_e32 v11, v5, v2
	v_sub_f16_e32 v2, v2, v5
	v_sub_f16_e32 v5, v1, v0
	v_add_f16_e32 v0, v0, v1
	v_pack_b32_f16 v2, v2, v0
	v_pack_b32_f16 v1, v5, v11
	v_fma_f16 v0, v6, s1, v9
	v_fma_f16 v5, v8, s11, v10
	v_add_f16_e32 v4, v0, v4
	v_fma_f16 v5, v7, s0, v5
	v_sub_f16_e32 v0, v4, v5
	v_pack_b32_f16 v0, v3, v0
	ds_write_b96 v125, v[0:2]
	v_add_f16_sdwa v1, v56, v48 dst_sel:DWORD dst_unused:UNUSED_PAD src0_sel:DWORD src1_sel:WORD_1
	v_add_f16_e32 v4, v5, v4
	v_pk_add_f16 v5, v75, v128
	v_add_f16_sdwa v7, v5, v1 dst_sel:DWORD dst_unused:UNUSED_PAD src0_sel:WORD_1 src1_sel:DWORD
	v_sub_f16_sdwa v8, v1, v5 dst_sel:DWORD dst_unused:UNUSED_PAD src0_sel:DWORD src1_sel:WORD_1
	v_sub_f16_e32 v1, v5, v1
	v_add_f16_e32 v7, v7, v5
	v_sub_f16_sdwa v5, v5, v5 dst_sel:DWORD dst_unused:UNUSED_PAD src0_sel:WORD_1 src1_sel:DWORD
	v_pk_add_f16 v6, v126, v71 neg_lo:[0,1] neg_hi:[0,1]
	v_mul_f16_e32 v1, 0x2b26, v1
	v_mul_f16_e32 v9, 0x3a52, v5
	v_sub_f16_e32 v0, v47, v49
	v_fma_f16 v5, v5, s1, v1
	v_fma_f16 v1, v8, s5, -v1
	v_fma_f16 v8, v8, s7, -v9
	v_add_f16_sdwa v9, v6, v6 dst_sel:DWORD dst_unused:UNUSED_PAD src0_sel:WORD_1 src1_sel:DWORD
	v_add_f16_e32 v9, v0, v9
	v_sub_f16_e32 v10, v0, v6
	v_sub_f16_sdwa v0, v6, v0 dst_sel:DWORD dst_unused:UNUSED_PAD src0_sel:WORD_1 src1_sel:DWORD
	v_sub_f16_sdwa v6, v6, v6 dst_sel:DWORD dst_unused:UNUSED_PAD src0_sel:DWORD src1_sel:WORD_1
	v_mul_f16_e32 v6, 0x3846, v6
	v_mul_f16_e32 v11, 0xbb00, v0
	v_fma_f16 v0, v0, s6, -v6
	v_fma_f16 v6, v10, s11, v6
	v_fma_f16 v10, v10, s10, -v11
	v_add_f16_sdwa v11, v7, v45 dst_sel:DWORD dst_unused:UNUSED_PAD src0_sel:DWORD src1_sel:WORD_1
	v_fma_f16 v7, v7, s4, v11
	v_add_f16_e32 v5, v5, v7
	v_add_f16_e32 v1, v1, v7
	;; [unrolled: 1-line block ×3, first 2 shown]
	v_fma_f16 v6, v9, s0, v6
	v_fma_f16 v0, v9, s0, v0
	;; [unrolled: 1-line block ×3, first 2 shown]
	v_add_f16_sdwa v3, v55, v62 dst_sel:DWORD dst_unused:UNUSED_PAD src0_sel:DWORD src1_sel:WORD_1
	v_add_f16_e32 v9, v0, v1
	v_sub_f16_e32 v0, v1, v0
	v_sub_f16_e32 v1, v7, v8
	v_add_f16_e32 v7, v8, v7
	v_sub_f16_e32 v8, v5, v6
	v_add_f16_e32 v5, v6, v5
	v_pk_add_f16 v6, v61, v130
	v_add_f16_sdwa v42, v6, v3 dst_sel:DWORD dst_unused:UNUSED_PAD src0_sel:WORD_1 src1_sel:DWORD
	ds_write_b16 v125, v4 offset:12
	v_sub_f16_sdwa v4, v3, v6 dst_sel:DWORD dst_unused:UNUSED_PAD src0_sel:DWORD src1_sel:WORD_1
	v_sub_f16_sdwa v43, v6, v6 dst_sel:DWORD dst_unused:UNUSED_PAD src0_sel:WORD_1 src1_sel:DWORD
	v_sub_f16_e32 v3, v6, v3
	v_pk_add_f16 v10, v129, v60 neg_lo:[0,1] neg_hi:[0,1]
	v_add_f16_e32 v6, v42, v6
	v_mul_f16_e32 v42, 0x3a52, v43
	v_mul_f16_e32 v3, 0x2b26, v3
	v_sub_f16_e32 v2, v59, v51
	v_fma_f16 v43, v43, s1, v3
	v_fma_f16 v3, v4, s5, -v3
	v_fma_f16 v4, v4, s7, -v42
	v_add_f16_sdwa v42, v10, v10 dst_sel:DWORD dst_unused:UNUSED_PAD src0_sel:WORD_1 src1_sel:DWORD
	v_add_f16_e32 v42, v2, v42
	v_sub_f16_e32 v44, v2, v10
	v_sub_f16_sdwa v2, v10, v2 dst_sel:DWORD dst_unused:UNUSED_PAD src0_sel:WORD_1 src1_sel:DWORD
	v_sub_f16_sdwa v10, v10, v10 dst_sel:DWORD dst_unused:UNUSED_PAD src0_sel:DWORD src1_sel:WORD_1
	v_mul_f16_e32 v10, 0x3846, v10
	v_mul_f16_e32 v45, 0xbb00, v2
	v_fma_f16 v2, v2, s6, -v10
	v_fma_f16 v10, v44, s11, v10
	v_fma_f16 v44, v44, s10, -v45
	v_add_f16_sdwa v45, v6, v50 dst_sel:DWORD dst_unused:UNUSED_PAD src0_sel:DWORD src1_sel:WORD_1
	v_fma_f16 v6, v6, s4, v45
	v_add_f16_e32 v43, v43, v6
	v_add_f16_e32 v3, v3, v6
	;; [unrolled: 1-line block ×3, first 2 shown]
	v_fma_f16 v6, v42, s0, v10
	v_fma_f16 v2, v42, s0, v2
	v_fma_f16 v10, v42, s0, v44
	v_add_f16_e32 v42, v2, v3
	v_sub_f16_e32 v3, v3, v2
	v_sub_f16_e32 v44, v4, v10
	v_add_f16_e32 v4, v10, v4
	v_sub_f16_e32 v10, v43, v6
	v_pack_b32_f16 v2, v0, v7
	v_pack_b32_f16 v1, v1, v9
	v_pack_b32_f16 v0, v11, v8
	ds_write_b96 v127, v[0:2]
	ds_write_b16 v127, v5 offset:12
	v_pack_b32_f16 v2, v3, v4
	v_pack_b32_f16 v1, v44, v42
	;; [unrolled: 1-line block ×3, first 2 shown]
	v_mov_b32_e32 v50, 37
	v_add_f16_e32 v6, v6, v43
	ds_write_b96 v23, v[0:2]
	ds_write_b16 v23, v6 offset:12
	v_mul_lo_u16_sdwa v0, v14, v50 dst_sel:DWORD dst_unused:UNUSED_PAD src0_sel:BYTE_0 src1_sel:DWORD
	v_sub_u16_sdwa v1, v14, v0 dst_sel:DWORD dst_unused:UNUSED_PAD src0_sel:DWORD src1_sel:BYTE_1
	v_lshrrev_b16_e32 v1, 1, v1
	v_and_b32_e32 v1, 0x7f, v1
	v_add_u16_sdwa v0, v1, v0 dst_sel:DWORD dst_unused:UNUSED_PAD src0_sel:DWORD src1_sel:BYTE_1
	v_lshrrev_b16_e32 v42, 2, v0
	v_mul_lo_u16_e32 v0, 7, v42
	v_sub_u16_e32 v43, v14, v0
	v_mov_b32_e32 v55, 6
	v_mul_u32_u24_sdwa v0, v43, v55 dst_sel:DWORD dst_unused:UNUSED_PAD src0_sel:BYTE_0 src1_sel:DWORD
	v_lshlrev_b32_e32 v49, 2, v0
	s_waitcnt lgkmcnt(0)
	; wave barrier
	s_waitcnt lgkmcnt(0)
	global_load_dwordx4 v[0:3], v49, s[8:9]
	v_mul_lo_u16_sdwa v4, v19, v50 dst_sel:DWORD dst_unused:UNUSED_PAD src0_sel:BYTE_0 src1_sel:DWORD
	v_mul_lo_u16_sdwa v8, v16, v50 dst_sel:DWORD dst_unused:UNUSED_PAD src0_sel:BYTE_0 src1_sel:DWORD
	v_sub_u16_sdwa v5, v19, v4 dst_sel:DWORD dst_unused:UNUSED_PAD src0_sel:DWORD src1_sel:BYTE_1
	v_sub_u16_sdwa v9, v16, v8 dst_sel:DWORD dst_unused:UNUSED_PAD src0_sel:DWORD src1_sel:BYTE_1
	v_lshrrev_b16_e32 v5, 1, v5
	v_lshrrev_b16_e32 v9, 1, v9
	v_and_b32_e32 v5, 0x7f, v5
	v_and_b32_e32 v9, 0x7f, v9
	v_add_u16_sdwa v4, v5, v4 dst_sel:DWORD dst_unused:UNUSED_PAD src0_sel:DWORD src1_sel:BYTE_1
	v_add_u16_sdwa v8, v9, v8 dst_sel:DWORD dst_unused:UNUSED_PAD src0_sel:DWORD src1_sel:BYTE_1
	v_lshrrev_b16_e32 v44, 2, v4
	v_lshrrev_b16_e32 v46, 2, v8
	v_mul_lo_u16_e32 v4, 7, v44
	v_mul_lo_u16_e32 v8, 7, v46
	v_sub_u16_e32 v45, v19, v4
	v_sub_u16_e32 v47, v16, v8
	v_mul_u32_u24_sdwa v4, v45, v55 dst_sel:DWORD dst_unused:UNUSED_PAD src0_sel:BYTE_0 src1_sel:DWORD
	v_mul_u32_u24_sdwa v8, v47, v55 dst_sel:DWORD dst_unused:UNUSED_PAD src0_sel:BYTE_0 src1_sel:DWORD
	v_lshlrev_b32_e32 v59, 2, v4
	global_load_dwordx4 v[4:7], v59, s[8:9]
	v_lshlrev_b32_e32 v92, 2, v8
	global_load_dwordx4 v[8:11], v92, s[8:9]
	ds_read_u16 v48, v21 offset:686
	ds_read_u16 v60, v21 offset:784
	;; [unrolled: 1-line block ×7, first 2 shown]
	global_load_dwordx2 v[142:143], v49, s[8:9] offset:16
	ds_read_u16 v61, v21
	s_movk_i32 s14, 0x2493
	v_mul_u32_u24_e32 v42, 0x62, v42
	s_movk_i32 s15, 0x4f
	s_waitcnt vmcnt(3) lgkmcnt(7)
	v_mul_f16_sdwa v49, v48, v0 dst_sel:DWORD dst_unused:UNUSED_PAD src0_sel:DWORD src1_sel:WORD_1
	v_fma_f16 v62, v110, v0, v49
	v_mul_f16_sdwa v49, v110, v0 dst_sel:DWORD dst_unused:UNUSED_PAD src0_sel:DWORD src1_sel:WORD_1
	v_fma_f16 v63, v48, v0, -v49
	v_mul_lo_u16_sdwa v0, v17, v50 dst_sel:DWORD dst_unused:UNUSED_PAD src0_sel:BYTE_0 src1_sel:DWORD
	v_sub_u16_sdwa v48, v17, v0 dst_sel:DWORD dst_unused:UNUSED_PAD src0_sel:DWORD src1_sel:BYTE_1
	v_lshrrev_b16_e32 v48, 1, v48
	v_and_b32_e32 v48, 0x7f, v48
	v_add_u16_sdwa v0, v48, v0 dst_sel:DWORD dst_unused:UNUSED_PAD src0_sel:DWORD src1_sel:BYTE_1
	v_lshrrev_b16_e32 v48, 2, v0
	v_mul_lo_u16_e32 v0, 7, v48
	v_sub_u16_e32 v49, v17, v0
	v_mul_u32_u24_sdwa v0, v49, v55 dst_sel:DWORD dst_unused:UNUSED_PAD src0_sel:BYTE_0 src1_sel:DWORD
	v_lshlrev_b32_e32 v0, 2, v0
	global_load_dwordx4 v[122:125], v0, s[8:9]
	ds_read_u16 v51, v21 offset:1372
	ds_read_u16 v94, v21 offset:1470
	;; [unrolled: 1-line block ×8, first 2 shown]
	s_waitcnt lgkmcnt(7)
	v_mul_f16_sdwa v71, v51, v1 dst_sel:DWORD dst_unused:UNUSED_PAD src0_sel:DWORD src1_sel:WORD_1
	v_mul_f16_sdwa v75, v105, v1 dst_sel:DWORD dst_unused:UNUSED_PAD src0_sel:DWORD src1_sel:WORD_1
	v_fma_f16 v71, v105, v1, v71
	v_fma_f16 v75, v51, v1, -v75
	s_waitcnt lgkmcnt(1)
	v_mul_f16_sdwa v1, v56, v2 dst_sel:DWORD dst_unused:UNUSED_PAD src0_sel:DWORD src1_sel:WORD_1
	v_fma_f16 v134, v107, v2, v1
	v_mul_lo_u16_sdwa v1, v18, v50 dst_sel:DWORD dst_unused:UNUSED_PAD src0_sel:BYTE_0 src1_sel:DWORD
	v_sub_u16_sdwa v50, v18, v1 dst_sel:DWORD dst_unused:UNUSED_PAD src0_sel:DWORD src1_sel:BYTE_1
	v_lshrrev_b16_e32 v50, 1, v50
	v_and_b32_e32 v50, 0x7f, v50
	v_add_u16_sdwa v1, v50, v1 dst_sel:DWORD dst_unused:UNUSED_PAD src0_sel:DWORD src1_sel:BYTE_1
	v_lshrrev_b16_e32 v50, 2, v1
	v_mul_lo_u16_e32 v1, 7, v50
	v_sub_u16_e32 v51, v18, v1
	v_mul_u32_u24_sdwa v1, v51, v55 dst_sel:DWORD dst_unused:UNUSED_PAD src0_sel:BYTE_0 src1_sel:DWORD
	v_lshlrev_b32_e32 v1, 2, v1
	v_mul_f16_sdwa v55, v107, v2 dst_sel:DWORD dst_unused:UNUSED_PAD src0_sel:DWORD src1_sel:WORD_1
	global_load_dwordx4 v[126:129], v1, s[8:9]
	v_fma_f16 v135, v56, v2, -v55
	ds_read_u16 v2, v21 offset:2744
	ds_read_u16 v101, v21 offset:2842
	ds_read_u16 v103, v21 offset:2156
	ds_read_u16 v104, v21 offset:2254
	ds_read_u16 v153, v21 offset:2352
	ds_read_u16 v154, v21 offset:2450
	ds_read_u16 v155, v21 offset:2548
	ds_read_u16 v156, v21 offset:2646
	s_waitcnt lgkmcnt(7)
	v_mul_f16_sdwa v55, v2, v3 dst_sel:DWORD dst_unused:UNUSED_PAD src0_sel:DWORD src1_sel:WORD_1
	v_fma_f16 v136, v106, v3, v55
	v_mul_u32_u24_sdwa v55, v20, s14 dst_sel:DWORD dst_unused:UNUSED_PAD src0_sel:WORD_0 src1_sel:DWORD
	v_sub_u16_sdwa v56, v20, v55 dst_sel:DWORD dst_unused:UNUSED_PAD src0_sel:DWORD src1_sel:WORD_1
	v_lshrrev_b16_e32 v56, 1, v56
	v_add_u16_sdwa v55, v56, v55 dst_sel:DWORD dst_unused:UNUSED_PAD src0_sel:DWORD src1_sel:WORD_1
	v_lshrrev_b16_e32 v55, 2, v55
	v_mul_lo_u16_e32 v56, 7, v55
	v_sub_u16_e32 v56, v20, v56
	v_mul_f16_sdwa v105, v106, v3 dst_sel:DWORD dst_unused:UNUSED_PAD src0_sel:DWORD src1_sel:WORD_1
	v_mul_u32_u24_e32 v106, 6, v56
	v_lshlrev_b32_e32 v157, 2, v106
	global_load_dwordx4 v[130:133], v157, s[8:9]
	global_load_dwordx2 v[144:145], v59, s[8:9] offset:16
	v_fma_f16 v137, v2, v3, -v105
	s_waitcnt vmcnt(6)
	v_mul_f16_sdwa v2, v60, v4 dst_sel:DWORD dst_unused:UNUSED_PAD src0_sel:DWORD src1_sel:WORD_1
	v_fma_f16 v113, v102, v4, v2
	v_mul_f16_sdwa v2, v102, v4 dst_sel:DWORD dst_unused:UNUSED_PAD src0_sel:DWORD src1_sel:WORD_1
	v_fma_f16 v115, v60, v4, -v2
	v_mul_f16_sdwa v2, v94, v5 dst_sel:DWORD dst_unused:UNUSED_PAD src0_sel:DWORD src1_sel:WORD_1
	v_fma_f16 v114, v96, v5, v2
	v_mul_f16_sdwa v2, v96, v5 dst_sel:DWORD dst_unused:UNUSED_PAD src0_sel:DWORD src1_sel:WORD_1
	v_fma_f16 v117, v94, v5, -v2
	s_waitcnt lgkmcnt(5)
	v_mul_f16_sdwa v2, v103, v6 dst_sel:DWORD dst_unused:UNUSED_PAD src0_sel:DWORD src1_sel:WORD_1
	v_fma_f16 v116, v97, v6, v2
	v_mul_f16_sdwa v2, v97, v6 dst_sel:DWORD dst_unused:UNUSED_PAD src0_sel:DWORD src1_sel:WORD_1
	v_fma_f16 v118, v103, v6, -v2
	v_mul_f16_sdwa v2, v101, v7 dst_sel:DWORD dst_unused:UNUSED_PAD src0_sel:DWORD src1_sel:WORD_1
	v_fma_f16 v119, v99, v7, v2
	v_mul_u32_u24_sdwa v2, v22, s14 dst_sel:DWORD dst_unused:UNUSED_PAD src0_sel:WORD_0 src1_sel:DWORD
	v_sub_u16_sdwa v3, v22, v2 dst_sel:DWORD dst_unused:UNUSED_PAD src0_sel:DWORD src1_sel:WORD_1
	v_lshrrev_b16_e32 v3, 1, v3
	v_add_u16_sdwa v2, v3, v2 dst_sel:DWORD dst_unused:UNUSED_PAD src0_sel:DWORD src1_sel:WORD_1
	v_lshrrev_b16_e32 v59, 2, v2
	v_mul_lo_u16_e32 v2, 7, v59
	v_sub_u16_e32 v60, v22, v2
	v_mul_u32_u24_e32 v2, 6, v60
	v_lshlrev_b32_e32 v4, 2, v2
	global_load_dwordx4 v[138:141], v4, s[8:9]
	global_load_dwordx2 v[146:147], v92, s[8:9] offset:16
	v_mul_f16_sdwa v2, v99, v7 dst_sel:DWORD dst_unused:UNUSED_PAD src0_sel:DWORD src1_sel:WORD_1
	v_fma_f16 v121, v101, v7, -v2
	s_waitcnt vmcnt(7)
	v_mul_f16_sdwa v2, v93, v8 dst_sel:DWORD dst_unused:UNUSED_PAD src0_sel:DWORD src1_sel:WORD_1
	v_fma_f16 v105, v98, v8, v2
	v_mul_f16_sdwa v2, v98, v8 dst_sel:DWORD dst_unused:UNUSED_PAD src0_sel:DWORD src1_sel:WORD_1
	v_fma_f16 v107, v93, v8, -v2
	v_mul_f16_sdwa v2, v95, v9 dst_sel:DWORD dst_unused:UNUSED_PAD src0_sel:DWORD src1_sel:WORD_1
	v_fma_f16 v106, v88, v9, v2
	v_mul_f16_sdwa v2, v88, v9 dst_sel:DWORD dst_unused:UNUSED_PAD src0_sel:DWORD src1_sel:WORD_1
	v_fma_f16 v109, v95, v9, -v2
	s_waitcnt lgkmcnt(4)
	v_mul_f16_sdwa v2, v104, v10 dst_sel:DWORD dst_unused:UNUSED_PAD src0_sel:DWORD src1_sel:WORD_1
	v_fma_f16 v108, v89, v10, v2
	v_mul_f16_sdwa v2, v89, v10 dst_sel:DWORD dst_unused:UNUSED_PAD src0_sel:DWORD src1_sel:WORD_1
	v_fma_f16 v110, v104, v10, -v2
	ds_read_u16 v2, v21 offset:2940
	ds_read_u16 v3, v21 offset:3038
	;; [unrolled: 1-line block ×8, first 2 shown]
	s_waitcnt lgkmcnt(7)
	v_mul_f16_sdwa v7, v2, v11 dst_sel:DWORD dst_unused:UNUSED_PAD src0_sel:DWORD src1_sel:WORD_1
	v_fma_f16 v111, v86, v11, v7
	v_mul_f16_sdwa v7, v86, v11 dst_sel:DWORD dst_unused:UNUSED_PAD src0_sel:DWORD src1_sel:WORD_1
	v_fma_f16 v112, v2, v11, -v7
	global_load_dwordx2 v[148:149], v0, s[8:9] offset:16
	s_waitcnt vmcnt(6)
	v_mul_f16_sdwa v0, v90, v122 dst_sel:DWORD dst_unused:UNUSED_PAD src0_sel:DWORD src1_sel:WORD_1
	v_fma_f16 v97, v91, v122, v0
	v_mul_f16_sdwa v0, v91, v122 dst_sel:DWORD dst_unused:UNUSED_PAD src0_sel:DWORD src1_sel:WORD_1
	v_fma_f16 v99, v90, v122, -v0
	v_mul_f16_sdwa v0, v100, v123 dst_sel:DWORD dst_unused:UNUSED_PAD src0_sel:DWORD src1_sel:WORD_1
	v_fma_f16 v98, v82, v123, v0
	v_mul_f16_sdwa v0, v82, v123 dst_sel:DWORD dst_unused:UNUSED_PAD src0_sel:DWORD src1_sel:WORD_1
	v_fma_f16 v101, v100, v123, -v0
	;; [unrolled: 4-line block ×3, first 2 shown]
	s_waitcnt lgkmcnt(6)
	v_mul_f16_sdwa v0, v3, v125 dst_sel:DWORD dst_unused:UNUSED_PAD src0_sel:DWORD src1_sel:WORD_1
	v_fma_f16 v103, v84, v125, v0
	v_mul_f16_sdwa v0, v84, v125 dst_sel:DWORD dst_unused:UNUSED_PAD src0_sel:DWORD src1_sel:WORD_1
	v_fma_f16 v104, v3, v125, -v0
	global_load_dwordx2 v[0:1], v1, s[8:9] offset:16
	s_waitcnt vmcnt(6)
	v_mul_f16_sdwa v2, v81, v126 dst_sel:DWORD dst_unused:UNUSED_PAD src0_sel:DWORD src1_sel:WORD_1
	v_fma_f16 v89, v85, v126, v2
	v_mul_f16_sdwa v2, v85, v126 dst_sel:DWORD dst_unused:UNUSED_PAD src0_sel:DWORD src1_sel:WORD_1
	v_fma_f16 v91, v81, v126, -v2
	v_mul_f16_sdwa v2, v150, v127 dst_sel:DWORD dst_unused:UNUSED_PAD src0_sel:DWORD src1_sel:WORD_1
	v_fma_f16 v90, v77, v127, v2
	v_mul_f16_sdwa v2, v77, v127 dst_sel:DWORD dst_unused:UNUSED_PAD src0_sel:DWORD src1_sel:WORD_1
	v_fma_f16 v93, v150, v127, -v2
	;; [unrolled: 4-line block ×3, first 2 shown]
	s_waitcnt lgkmcnt(5)
	v_mul_f16_sdwa v2, v5, v129 dst_sel:DWORD dst_unused:UNUSED_PAD src0_sel:DWORD src1_sel:WORD_1
	v_fma_f16 v95, v79, v129, v2
	v_mul_f16_sdwa v2, v79, v129 dst_sel:DWORD dst_unused:UNUSED_PAD src0_sel:DWORD src1_sel:WORD_1
	v_fma_f16 v96, v5, v129, -v2
	s_waitcnt vmcnt(5)
	v_mul_f16_sdwa v5, v87, v130 dst_sel:DWORD dst_unused:UNUSED_PAD src0_sel:DWORD src1_sel:WORD_1
	v_fma_f16 v81, v80, v130, v5
	v_mul_f16_sdwa v5, v80, v130 dst_sel:DWORD dst_unused:UNUSED_PAD src0_sel:DWORD src1_sel:WORD_1
	v_fma_f16 v83, v87, v130, -v5
	v_mul_f16_sdwa v5, v151, v131 dst_sel:DWORD dst_unused:UNUSED_PAD src0_sel:DWORD src1_sel:WORD_1
	v_fma_f16 v82, v65, v131, v5
	v_mul_f16_sdwa v5, v65, v131 dst_sel:DWORD dst_unused:UNUSED_PAD src0_sel:DWORD src1_sel:WORD_1
	global_load_dwordx2 v[2:3], v157, s[8:9] offset:16
	v_fma_f16 v85, v151, v131, -v5
	v_mul_f16_sdwa v5, v155, v132 dst_sel:DWORD dst_unused:UNUSED_PAD src0_sel:DWORD src1_sel:WORD_1
	v_fma_f16 v84, v68, v132, v5
	v_mul_f16_sdwa v5, v68, v132 dst_sel:DWORD dst_unused:UNUSED_PAD src0_sel:DWORD src1_sel:WORD_1
	v_fma_f16 v86, v155, v132, -v5
	s_waitcnt lgkmcnt(4)
	v_mul_f16_sdwa v5, v6, v133 dst_sel:DWORD dst_unused:UNUSED_PAD src0_sel:DWORD src1_sel:WORD_1
	v_fma_f16 v87, v69, v133, v5
	v_mul_f16_sdwa v5, v69, v133 dst_sel:DWORD dst_unused:UNUSED_PAD src0_sel:DWORD src1_sel:WORD_1
	v_fma_f16 v88, v6, v133, -v5
	global_load_dwordx2 v[4:5], v4, s[8:9] offset:16
	v_mul_f16_sdwa v68, v70, v142 dst_sel:DWORD dst_unused:UNUSED_PAD src0_sel:DWORD src1_sel:WORD_1
	s_waitcnt lgkmcnt(2)
	v_fma_f16 v68, v159, v142, -v68
	s_movk_i32 s14, 0x2b26
	v_sub_f16_e32 v153, v96, v94
	s_waitcnt vmcnt(5)
	v_mul_f16_sdwa v11, v73, v140 dst_sel:DWORD dst_unused:UNUSED_PAD src0_sel:DWORD src1_sel:WORD_1
	v_fma_f16 v65, v156, v140, -v11
	v_mul_f16_sdwa v11, v158, v141 dst_sel:DWORD dst_unused:UNUSED_PAD src0_sel:DWORD src1_sel:WORD_1
	v_mul_f16_sdwa v7, v76, v138 dst_sel:DWORD dst_unused:UNUSED_PAD src0_sel:DWORD src1_sel:WORD_1
	;; [unrolled: 1-line block ×3, first 2 shown]
	v_fma_f16 v79, v72, v141, v11
	v_mul_f16_sdwa v11, v72, v141 dst_sel:DWORD dst_unused:UNUSED_PAD src0_sel:DWORD src1_sel:WORD_1
	v_mul_f16_sdwa v6, v120, v138 dst_sel:DWORD dst_unused:UNUSED_PAD src0_sel:DWORD src1_sel:WORD_1
	v_fma_f16 v8, v120, v138, -v7
	v_mul_f16_sdwa v7, v152, v139 dst_sel:DWORD dst_unused:UNUSED_PAD src0_sel:DWORD src1_sel:WORD_1
	v_fma_f16 v10, v152, v139, -v9
	;; [unrolled: 2-line block ×3, first 2 shown]
	v_mul_f16_sdwa v11, v159, v142 dst_sel:DWORD dst_unused:UNUSED_PAD src0_sel:DWORD src1_sel:WORD_1
	v_fma_f16 v6, v76, v138, v6
	v_fma_f16 v7, v74, v139, v7
	;; [unrolled: 1-line block ×4, first 2 shown]
	ds_read_u16 v73, v21 offset:4116
	ds_read_u16 v74, v21 offset:4214
	ds_read_u16 v76, v21 offset:4312
	ds_read_u16 v77, v21 offset:4410
	ds_read_u16 v78, v21 offset:3724
	ds_read_u16 v138, v21 offset:3822
	ds_read_u16 v72, v21 offset:3920
	ds_read_u16 v70, v21 offset:4018
	s_waitcnt lgkmcnt(7)
	v_mul_f16_sdwa v69, v73, v143 dst_sel:DWORD dst_unused:UNUSED_PAD src0_sel:DWORD src1_sel:WORD_1
	v_fma_f16 v69, v67, v143, v69
	v_mul_f16_sdwa v67, v67, v143 dst_sel:DWORD dst_unused:UNUSED_PAD src0_sel:DWORD src1_sel:WORD_1
	v_fma_f16 v67, v73, v143, -v67
	v_mul_f16_sdwa v73, v160, v144 dst_sel:DWORD dst_unused:UNUSED_PAD src0_sel:DWORD src1_sel:WORD_1
	v_fma_f16 v130, v66, v144, v73
	v_mul_f16_sdwa v66, v66, v144 dst_sel:DWORD dst_unused:UNUSED_PAD src0_sel:DWORD src1_sel:WORD_1
	v_fma_f16 v131, v160, v144, -v66
	s_waitcnt lgkmcnt(6)
	v_mul_f16_sdwa v66, v74, v145 dst_sel:DWORD dst_unused:UNUSED_PAD src0_sel:DWORD src1_sel:WORD_1
	v_fma_f16 v132, v64, v145, v66
	v_mul_f16_sdwa v64, v64, v145 dst_sel:DWORD dst_unused:UNUSED_PAD src0_sel:DWORD src1_sel:WORD_1
	v_fma_f16 v133, v74, v145, -v64
	s_waitcnt vmcnt(4)
	v_mul_f16_sdwa v64, v161, v146 dst_sel:DWORD dst_unused:UNUSED_PAD src0_sel:DWORD src1_sel:WORD_1
	v_fma_f16 v126, v54, v146, v64
	v_mul_f16_sdwa v54, v54, v146 dst_sel:DWORD dst_unused:UNUSED_PAD src0_sel:DWORD src1_sel:WORD_1
	v_fma_f16 v127, v161, v146, -v54
	s_waitcnt lgkmcnt(5)
	v_mul_f16_sdwa v54, v76, v147 dst_sel:DWORD dst_unused:UNUSED_PAD src0_sel:DWORD src1_sel:WORD_1
	v_fma_f16 v128, v53, v147, v54
	v_mul_f16_sdwa v53, v53, v147 dst_sel:DWORD dst_unused:UNUSED_PAD src0_sel:DWORD src1_sel:WORD_1
	v_fma_f16 v129, v76, v147, -v53
	s_waitcnt vmcnt(3) lgkmcnt(3)
	v_mul_f16_sdwa v53, v78, v148 dst_sel:DWORD dst_unused:UNUSED_PAD src0_sel:DWORD src1_sel:WORD_1
	v_fma_f16 v122, v58, v148, v53
	v_mul_f16_sdwa v53, v58, v148 dst_sel:DWORD dst_unused:UNUSED_PAD src0_sel:DWORD src1_sel:WORD_1
	v_fma_f16 v123, v78, v148, -v53
	v_mul_f16_sdwa v53, v77, v149 dst_sel:DWORD dst_unused:UNUSED_PAD src0_sel:DWORD src1_sel:WORD_1
	v_fma_f16 v124, v52, v149, v53
	v_mul_f16_sdwa v52, v52, v149 dst_sel:DWORD dst_unused:UNUSED_PAD src0_sel:DWORD src1_sel:WORD_1
	v_fma_f16 v125, v77, v149, -v52
	s_waitcnt vmcnt(2) lgkmcnt(2)
	v_mul_f16_sdwa v52, v138, v0 dst_sel:DWORD dst_unused:UNUSED_PAD src0_sel:DWORD src1_sel:WORD_1
	v_fma_f16 v120, v57, v0, v52
	v_mul_f16_sdwa v52, v57, v0 dst_sel:DWORD dst_unused:UNUSED_PAD src0_sel:DWORD src1_sel:WORD_1
	v_fma_f16 v0, v138, v0, -v52
	ds_read_u16 v54, v21 offset:4508
	ds_read_u16 v53, v21 offset:4606
	;; [unrolled: 1-line block ×3, first 2 shown]
	ds_read_u16 v146, v26
	ds_read_u16 v143, v27
	;; [unrolled: 1-line block ×5, first 2 shown]
	s_waitcnt lgkmcnt(7)
	v_mul_f16_sdwa v57, v54, v1 dst_sel:DWORD dst_unused:UNUSED_PAD src0_sel:DWORD src1_sel:WORD_1
	v_fma_f16 v144, v39, v1, v57
	v_mul_f16_sdwa v39, v39, v1 dst_sel:DWORD dst_unused:UNUSED_PAD src0_sel:DWORD src1_sel:WORD_1
	v_fma_f16 v145, v54, v1, -v39
	v_sub_f16_e32 v39, v63, v67
	v_sub_f16_e32 v54, v136, v134
	v_add_f16_e32 v57, v135, v137
	v_sub_f16_e32 v58, v137, v135
	v_sub_f16_e32 v73, v101, v123
	;; [unrolled: 1-line block ×3, first 2 shown]
	s_waitcnt vmcnt(1)
	v_mul_f16_sdwa v1, v72, v2 dst_sel:DWORD dst_unused:UNUSED_PAD src0_sel:DWORD src1_sel:WORD_1
	v_fma_f16 v139, v38, v2, v1
	v_mul_f16_sdwa v1, v38, v2 dst_sel:DWORD dst_unused:UNUSED_PAD src0_sel:DWORD src1_sel:WORD_1
	v_fma_f16 v140, v72, v2, -v1
	s_waitcnt lgkmcnt(6)
	v_mul_f16_sdwa v1, v53, v3 dst_sel:DWORD dst_unused:UNUSED_PAD src0_sel:DWORD src1_sel:WORD_1
	v_fma_f16 v141, v37, v3, v1
	v_mul_f16_sdwa v1, v37, v3 dst_sel:DWORD dst_unused:UNUSED_PAD src0_sel:DWORD src1_sel:WORD_1
	v_fma_f16 v142, v53, v3, -v1
	v_sub_f16_e32 v37, v62, v69
	v_add_f16_e32 v38, v63, v67
	s_waitcnt vmcnt(0)
	v_mul_f16_sdwa v1, v70, v4 dst_sel:DWORD dst_unused:UNUSED_PAD src0_sel:DWORD src1_sel:WORD_1
	v_mul_f16_sdwa v2, v41, v4 dst_sel:DWORD dst_unused:UNUSED_PAD src0_sel:DWORD src1_sel:WORD_1
	v_fma_f16 v1, v41, v4, v1
	v_fma_f16 v2, v70, v4, -v2
	s_waitcnt lgkmcnt(5)
	v_mul_f16_sdwa v3, v52, v5 dst_sel:DWORD dst_unused:UNUSED_PAD src0_sel:DWORD src1_sel:WORD_1
	v_mul_f16_sdwa v4, v40, v5 dst_sel:DWORD dst_unused:UNUSED_PAD src0_sel:DWORD src1_sel:WORD_1
	v_fma_f16 v3, v40, v5, v3
	v_fma_f16 v4, v52, v5, -v4
	v_add_f16_e32 v5, v62, v69
	v_add_f16_e32 v40, v71, v11
	v_add_f16_e32 v41, v75, v68
	v_add_f16_e32 v53, v134, v136
	v_add_f16_e32 v62, v40, v5
	v_sub_f16_e32 v11, v71, v11
	v_sub_f16_e32 v63, v40, v5
	;; [unrolled: 1-line block ×4, first 2 shown]
	v_add_f16_e32 v53, v53, v62
	v_add_f16_e32 v62, v41, v38
	v_sub_f16_e32 v52, v75, v68
	v_sub_f16_e32 v64, v41, v38
	;; [unrolled: 1-line block ×4, first 2 shown]
	v_add_f16_e32 v57, v57, v62
	v_add_f16_e32 v62, v54, v11
	v_sub_f16_e32 v66, v54, v11
	v_sub_f16_e32 v54, v37, v54
	;; [unrolled: 1-line block ×3, first 2 shown]
	v_add_f16_e32 v37, v62, v37
	v_add_f16_e32 v62, v58, v52
	v_sub_f16_e32 v67, v58, v52
	v_sub_f16_e32 v58, v39, v58
	;; [unrolled: 1-line block ×3, first 2 shown]
	v_add_f16_e32 v39, v62, v39
	v_mul_f16_e32 v5, 0x3a52, v5
	v_mul_f16_e32 v62, 0x2b26, v40
	v_fma_f16 v40, v40, s14, v5
	v_fma_f16 v62, v63, s5, -v62
	v_fma_f16 v5, v63, s7, -v5
	v_mul_f16_e32 v38, 0x3a52, v38
	v_mul_f16_e32 v63, 0x2b26, v41
	v_fma_f16 v41, v41, s14, v38
	v_fma_f16 v63, v64, s5, -v63
	v_fma_f16 v38, v64, s7, -v38
	v_mul_f16_e32 v64, 0x3846, v66
	v_mul_f16_e32 v66, 0xbb00, v11
	v_add_f16_e32 v36, v36, v53
	v_fma_f16 v11, v11, s6, -v64
	v_fma_f16 v64, v54, s11, v64
	v_fma_f16 v54, v54, s10, -v66
	v_mul_f16_e32 v66, 0x3846, v67
	v_mul_f16_e32 v67, 0xbb00, v52
	v_fma_f16 v53, v53, s4, v36
	v_add_f16_e32 v134, v61, v57
	v_fma_f16 v52, v52, s6, -v66
	v_fma_f16 v66, v58, s11, v66
	v_fma_f16 v58, v58, s10, -v67
	v_add_f16_e32 v40, v40, v53
	v_add_f16_e32 v62, v62, v53
	;; [unrolled: 1-line block ×3, first 2 shown]
	v_fma_f16 v53, v57, s4, v134
	v_add_f16_e32 v41, v41, v53
	v_add_f16_e32 v57, v63, v53
	;; [unrolled: 1-line block ×3, first 2 shown]
	v_fma_f16 v53, v37, s0, v64
	v_fma_f16 v11, v37, s0, v11
	;; [unrolled: 1-line block ×6, first 2 shown]
	v_add_f16_e32 v135, v11, v57
	v_sub_f16_e32 v136, v57, v11
	v_add_f16_e32 v11, v39, v5
	v_sub_f16_e32 v5, v5, v39
	v_sub_f16_e32 v137, v38, v37
	v_add_f16_e32 v149, v37, v38
	v_add_f16_e32 v37, v54, v40
	v_sub_f16_e32 v38, v40, v54
	v_add_f16_e32 v39, v113, v132
	v_add_f16_e32 v40, v114, v130
	;; [unrolled: 3-line block ×3, first 2 shown]
	v_add_f16_e32 v53, v40, v39
	v_sub_f16_e32 v57, v117, v131
	v_sub_f16_e32 v61, v121, v118
	;; [unrolled: 1-line block ×3, first 2 shown]
	v_add_f16_e32 v52, v52, v62
	v_sub_f16_e32 v54, v40, v39
	v_sub_f16_e32 v39, v39, v41
	;; [unrolled: 1-line block ×3, first 2 shown]
	v_add_f16_e32 v41, v41, v53
	v_sub_f16_e32 v53, v115, v133
	v_add_f16_e32 v62, v61, v57
	v_sub_f16_e32 v63, v61, v57
	v_sub_f16_e32 v61, v53, v61
	;; [unrolled: 1-line block ×3, first 2 shown]
	v_add_f16_e32 v53, v62, v53
	v_mul_f16_e32 v39, 0x3a52, v39
	v_mul_f16_e32 v62, 0x2b26, v40
	v_fma_f16 v40, v40, s14, v39
	v_fma_f16 v62, v54, s5, -v62
	v_fma_f16 v39, v54, s7, -v39
	v_mul_f16_e32 v54, 0x3846, v63
	v_mul_f16_e32 v63, 0xbb00, v57
	v_add_f16_e32 v35, v35, v41
	v_fma_f16 v57, v57, s6, -v54
	v_fma_f16 v54, v61, s11, v54
	v_fma_f16 v61, v61, s10, -v63
	v_fma_f16 v41, v41, s4, v35
	v_add_f16_e32 v40, v40, v41
	v_add_f16_e32 v62, v62, v41
	;; [unrolled: 1-line block ×3, first 2 shown]
	v_fma_f16 v41, v53, s0, v54
	v_fma_f16 v54, v53, s0, v57
	;; [unrolled: 1-line block ×3, first 2 shown]
	v_sub_f16_e32 v57, v62, v54
	v_add_f16_e32 v54, v54, v62
	v_add_f16_e32 v61, v53, v39
	v_sub_f16_e32 v39, v39, v53
	v_add_f16_e32 v53, v41, v40
	v_sub_f16_e32 v40, v40, v41
	v_add_f16_e32 v41, v105, v128
	v_add_f16_e32 v62, v106, v126
	;; [unrolled: 1-line block ×4, first 2 shown]
	v_sub_f16_e32 v67, v109, v127
	v_sub_f16_e32 v68, v112, v110
	v_sub_f16_e32 v66, v62, v41
	v_sub_f16_e32 v41, v41, v63
	v_sub_f16_e32 v62, v63, v62
	v_add_f16_e32 v63, v63, v64
	v_sub_f16_e32 v64, v107, v129
	v_add_f16_e32 v69, v68, v67
	v_sub_f16_e32 v70, v68, v67
	v_sub_f16_e32 v68, v64, v68
	;; [unrolled: 1-line block ×3, first 2 shown]
	v_add_f16_e32 v64, v69, v64
	v_mul_f16_e32 v41, 0x3a52, v41
	v_mul_f16_e32 v69, 0x2b26, v62
	v_fma_f16 v62, v62, s14, v41
	v_fma_f16 v69, v66, s5, -v69
	v_fma_f16 v41, v66, s7, -v41
	v_mul_f16_e32 v66, 0x3846, v70
	v_mul_f16_e32 v70, 0xbb00, v67
	v_add_f16_e32 v34, v34, v63
	v_fma_f16 v67, v67, s6, -v66
	v_fma_f16 v66, v68, s11, v66
	v_fma_f16 v68, v68, s10, -v70
	v_fma_f16 v63, v63, s4, v34
	v_add_f16_e32 v62, v62, v63
	v_add_f16_e32 v69, v69, v63
	;; [unrolled: 1-line block ×3, first 2 shown]
	v_fma_f16 v63, v64, s0, v66
	v_fma_f16 v66, v64, s0, v67
	;; [unrolled: 1-line block ×3, first 2 shown]
	v_sub_f16_e32 v67, v69, v66
	v_add_f16_e32 v66, v66, v69
	v_add_f16_e32 v68, v64, v41
	v_sub_f16_e32 v41, v41, v64
	v_add_f16_e32 v64, v63, v62
	v_sub_f16_e32 v62, v62, v63
	v_add_f16_e32 v63, v97, v124
	v_add_f16_e32 v69, v98, v122
	;; [unrolled: 1-line block ×4, first 2 shown]
	v_sub_f16_e32 v72, v69, v63
	v_sub_f16_e32 v63, v63, v70
	;; [unrolled: 1-line block ×3, first 2 shown]
	v_add_f16_e32 v70, v70, v71
	v_sub_f16_e32 v71, v99, v125
	v_add_f16_e32 v75, v74, v73
	v_sub_f16_e32 v76, v74, v73
	v_sub_f16_e32 v74, v71, v74
	v_sub_f16_e32 v73, v73, v71
	v_add_f16_e32 v71, v75, v71
	v_mul_f16_e32 v63, 0x3a52, v63
	v_mul_f16_e32 v75, 0x2b26, v69
	v_fma_f16 v69, v69, s14, v63
	v_fma_f16 v75, v72, s5, -v75
	v_fma_f16 v63, v72, s7, -v63
	v_mul_f16_e32 v72, 0x3846, v76
	v_mul_f16_e32 v76, 0xbb00, v73
	v_add_f16_e32 v33, v33, v70
	v_fma_f16 v73, v73, s6, -v72
	v_fma_f16 v72, v74, s11, v72
	v_fma_f16 v74, v74, s10, -v76
	v_fma_f16 v70, v70, s4, v33
	v_add_f16_e32 v69, v69, v70
	v_add_f16_e32 v75, v75, v70
	;; [unrolled: 1-line block ×3, first 2 shown]
	v_fma_f16 v70, v71, s0, v72
	v_fma_f16 v72, v71, s0, v73
	;; [unrolled: 1-line block ×3, first 2 shown]
	v_sub_f16_e32 v73, v75, v72
	v_add_f16_e32 v72, v72, v75
	v_add_f16_e32 v74, v71, v63
	v_sub_f16_e32 v63, v63, v71
	v_add_f16_e32 v71, v70, v69
	v_sub_f16_e32 v69, v69, v70
	v_add_f16_e32 v70, v89, v144
	v_add_f16_e32 v75, v90, v120
	;; [unrolled: 1-line block ×4, first 2 shown]
	v_sub_f16_e32 v152, v93, v0
	v_sub_f16_e32 v78, v75, v70
	;; [unrolled: 1-line block ×4, first 2 shown]
	v_add_f16_e32 v76, v76, v77
	v_sub_f16_e32 v77, v91, v145
	v_add_f16_e32 v154, v153, v152
	v_sub_f16_e32 v155, v153, v152
	v_sub_f16_e32 v153, v77, v153
	;; [unrolled: 1-line block ×3, first 2 shown]
	v_add_f16_e32 v77, v154, v77
	v_mul_f16_e32 v70, 0x3a52, v70
	v_mul_f16_e32 v154, 0x2b26, v75
	v_fma_f16 v75, v75, s14, v70
	v_fma_f16 v154, v78, s5, -v154
	v_fma_f16 v70, v78, s7, -v70
	v_mul_f16_e32 v78, 0x3846, v155
	v_mul_f16_e32 v155, 0xbb00, v152
	v_add_f16_e32 v32, v32, v76
	v_fma_f16 v152, v152, s6, -v78
	v_fma_f16 v78, v153, s11, v78
	v_fma_f16 v153, v153, s10, -v155
	v_fma_f16 v76, v76, s4, v32
	v_add_f16_e32 v75, v75, v76
	v_add_f16_e32 v154, v154, v76
	v_add_f16_e32 v70, v70, v76
	v_fma_f16 v76, v77, s0, v78
	v_fma_f16 v78, v77, s0, v152
	;; [unrolled: 1-line block ×3, first 2 shown]
	v_sub_f16_e32 v152, v154, v78
	v_add_f16_e32 v78, v78, v154
	v_add_f16_e32 v153, v77, v70
	v_sub_f16_e32 v70, v70, v77
	v_add_f16_e32 v77, v76, v75
	v_sub_f16_e32 v75, v75, v76
	v_add_f16_e32 v76, v81, v141
	v_add_f16_e32 v154, v82, v139
	v_add_f16_e32 v155, v84, v87
	v_add_f16_e32 v156, v154, v76
	v_sub_f16_e32 v158, v85, v140
	v_sub_f16_e32 v159, v88, v86
	;; [unrolled: 1-line block ×5, first 2 shown]
	v_add_f16_e32 v155, v155, v156
	v_sub_f16_e32 v156, v83, v142
	v_add_f16_e32 v160, v159, v158
	v_sub_f16_e32 v161, v159, v158
	v_sub_f16_e32 v159, v156, v159
	;; [unrolled: 1-line block ×3, first 2 shown]
	v_add_f16_e32 v156, v160, v156
	v_mul_f16_e32 v76, 0x3a52, v76
	v_mul_f16_e32 v160, 0x2b26, v154
	v_fma_f16 v154, v154, s14, v76
	v_fma_f16 v160, v157, s5, -v160
	v_fma_f16 v76, v157, s7, -v76
	v_mul_f16_e32 v157, 0x3846, v161
	v_mul_f16_e32 v161, 0xbb00, v158
	v_add_f16_e32 v31, v31, v155
	v_fma_f16 v158, v158, s6, -v157
	v_fma_f16 v157, v159, s11, v157
	v_fma_f16 v159, v159, s10, -v161
	v_fma_f16 v155, v155, s4, v31
	v_add_f16_e32 v154, v154, v155
	v_add_f16_e32 v160, v160, v155
	;; [unrolled: 1-line block ×3, first 2 shown]
	v_fma_f16 v155, v156, s0, v157
	v_fma_f16 v157, v156, s0, v158
	;; [unrolled: 1-line block ×3, first 2 shown]
	v_sub_f16_e32 v158, v160, v157
	v_add_f16_e32 v157, v157, v160
	v_add_f16_e32 v159, v156, v76
	v_sub_f16_e32 v76, v76, v156
	v_add_f16_e32 v156, v155, v154
	v_sub_f16_e32 v154, v154, v155
	v_add_f16_e32 v155, v6, v3
	v_add_f16_e32 v160, v7, v1
	;; [unrolled: 1-line block ×4, first 2 shown]
	v_sub_f16_e32 v164, v10, v2
	v_sub_f16_e32 v165, v80, v65
	;; [unrolled: 1-line block ×5, first 2 shown]
	v_add_f16_e32 v161, v161, v162
	v_sub_f16_e32 v162, v8, v4
	v_add_f16_e32 v166, v165, v164
	v_sub_f16_e32 v167, v165, v164
	v_sub_f16_e32 v165, v162, v165
	;; [unrolled: 1-line block ×3, first 2 shown]
	v_add_f16_e32 v162, v166, v162
	v_mul_f16_e32 v155, 0x3a52, v155
	v_mul_f16_e32 v166, 0x2b26, v160
	v_fma_f16 v160, v160, s14, v155
	v_fma_f16 v166, v163, s5, -v166
	v_fma_f16 v155, v163, s7, -v155
	v_mul_f16_e32 v163, 0x3846, v167
	v_mul_f16_e32 v167, 0xbb00, v164
	v_add_f16_e32 v30, v30, v161
	v_fma_f16 v164, v164, s6, -v163
	v_fma_f16 v163, v165, s11, v163
	v_fma_f16 v165, v165, s10, -v167
	v_fma_f16 v161, v161, s4, v30
	v_add_f16_e32 v160, v160, v161
	v_add_f16_e32 v166, v166, v161
	v_add_f16_e32 v155, v155, v161
	v_fma_f16 v161, v162, s0, v163
	v_fma_f16 v163, v162, s0, v164
	;; [unrolled: 1-line block ×3, first 2 shown]
	v_add_f16_e32 v165, v162, v155
	v_sub_f16_e32 v155, v155, v162
	v_add_f16_e32 v162, v161, v160
	v_sub_f16_e32 v160, v160, v161
	v_mov_b32_e32 v161, 1
	v_lshlrev_b32_sdwa v43, v161, v43 dst_sel:DWORD dst_unused:UNUSED_PAD src0_sel:DWORD src1_sel:BYTE_0
	v_sub_f16_e32 v164, v166, v163
	v_add_f16_e32 v163, v163, v166
	v_add3_u32 v166, 0, v42, v43
	ds_read_u16 v167, v29
	s_waitcnt lgkmcnt(0)
	; wave barrier
	s_waitcnt lgkmcnt(0)
	ds_write_b16 v166, v36
	ds_write_b16 v166, v37 offset:14
	ds_write_b16 v166, v11 offset:28
	;; [unrolled: 1-line block ×6, first 2 shown]
	v_mul_u32_u24_e32 v5, 0x62, v44
	v_lshlrev_b32_sdwa v11, v161, v45 dst_sel:DWORD dst_unused:UNUSED_PAD src0_sel:DWORD src1_sel:BYTE_0
	v_add3_u32 v5, 0, v5, v11
	ds_write_b16 v5, v35
	ds_write_b16 v5, v53 offset:14
	ds_write_b16 v5, v61 offset:28
	;; [unrolled: 1-line block ×6, first 2 shown]
	v_mul_u32_u24_e32 v11, 0x62, v46
	v_lshlrev_b32_sdwa v35, v161, v47 dst_sel:DWORD dst_unused:UNUSED_PAD src0_sel:DWORD src1_sel:BYTE_0
	v_add3_u32 v168, 0, v11, v35
	ds_write_b16 v168, v34
	ds_write_b16 v168, v64 offset:14
	ds_write_b16 v168, v68 offset:28
	;; [unrolled: 1-line block ×6, first 2 shown]
	v_mul_u32_u24_e32 v11, 0x62, v48
	v_lshlrev_b32_sdwa v34, v161, v49 dst_sel:DWORD dst_unused:UNUSED_PAD src0_sel:DWORD src1_sel:BYTE_0
	v_add_f16_e32 v115, v115, v133
	v_add_f16_e32 v117, v117, v131
	v_add3_u32 v169, 0, v11, v34
	v_sub_f16_e32 v114, v114, v130
	v_add_f16_e32 v118, v118, v121
	v_sub_f16_e32 v116, v119, v116
	v_add_f16_e32 v119, v117, v115
	ds_write_b16 v169, v33
	ds_write_b16 v169, v71 offset:14
	ds_write_b16 v169, v74 offset:28
	;; [unrolled: 1-line block ×6, first 2 shown]
	v_lshlrev_b32_sdwa v11, v161, v51 dst_sel:DWORD dst_unused:UNUSED_PAD src0_sel:DWORD src1_sel:BYTE_0
	v_mul_u32_u24_e32 v33, 0x62, v50
	v_sub_f16_e32 v113, v113, v132
	v_sub_f16_e32 v121, v117, v115
	;; [unrolled: 1-line block ×4, first 2 shown]
	v_add_f16_e32 v118, v118, v119
	v_add_f16_e32 v119, v116, v114
	v_add3_u32 v161, 0, v33, v11
	v_sub_f16_e32 v130, v116, v114
	v_sub_f16_e32 v116, v113, v116
	;; [unrolled: 1-line block ×3, first 2 shown]
	v_add_f16_e32 v113, v119, v113
	v_mul_f16_e32 v115, 0x3a52, v115
	v_mul_f16_e32 v119, 0x2b26, v117
	ds_write_b16 v161, v32
	ds_write_b16 v161, v77 offset:14
	ds_write_b16 v161, v153 offset:28
	;; [unrolled: 1-line block ×6, first 2 shown]
	v_mul_u32_u24_e32 v11, 0x62, v55
	v_lshlrev_b32_e32 v32, 1, v56
	v_fma_f16 v117, v117, s14, v115
	v_fma_f16 v119, v121, s5, -v119
	v_fma_f16 v115, v121, s7, -v115
	v_mul_f16_e32 v121, 0x3846, v130
	v_mul_f16_e32 v130, 0xbb00, v114
	v_add3_u32 v152, 0, v11, v32
	v_fma_f16 v114, v114, s6, -v121
	v_fma_f16 v121, v116, s11, v121
	v_fma_f16 v116, v116, s10, -v130
	v_add_f16_e32 v130, v148, v118
	ds_write_b16 v152, v31
	ds_write_b16 v152, v156 offset:14
	ds_write_b16 v152, v159 offset:28
	;; [unrolled: 1-line block ×6, first 2 shown]
	v_mul_u32_u24_e32 v11, 0x62, v59
	v_lshlrev_b32_e32 v31, 1, v60
	v_fma_f16 v118, v118, s4, v130
	v_add3_u32 v153, 0, v11, v31
	v_add_f16_e32 v117, v117, v118
	v_add_f16_e32 v119, v119, v118
	;; [unrolled: 1-line block ×3, first 2 shown]
	v_fma_f16 v118, v113, s0, v121
	v_fma_f16 v114, v113, s0, v114
	;; [unrolled: 1-line block ×3, first 2 shown]
	ds_write_b16 v153, v30
	ds_write_b16 v153, v162 offset:14
	ds_write_b16 v153, v165 offset:28
	;; [unrolled: 1-line block ×6, first 2 shown]
	s_waitcnt lgkmcnt(0)
	; wave barrier
	s_waitcnt lgkmcnt(0)
	ds_read_u16 v38, v21 offset:3626
	ds_read_u16 v37, v21 offset:4312
	;; [unrolled: 1-line block ×3, first 2 shown]
	ds_read_u16 v32, v26
	ds_read_u16 v31, v27
	;; [unrolled: 1-line block ×3, first 2 shown]
	ds_read_u16 v75, v21 offset:1372
	ds_read_u16 v73, v21 offset:1470
	;; [unrolled: 1-line block ×20, first 2 shown]
	ds_read_u16 v11, v29
	ds_read_u16 v35, v21
	ds_read_u16 v78, v21 offset:686
	ds_read_u16 v74, v21 offset:784
	ds_read_u16 v70, v21 offset:882
	ds_read_u16 v69, v21 offset:980
	ds_read_u16 v64, v21 offset:1078
	ds_read_u16 v60, v21 offset:1176
	ds_read_u16 v56, v21 offset:1274
	ds_read_u16 v77, v21 offset:2058
	ds_read_u16 v55, v21 offset:1960
	ds_read_u16 v72, v21 offset:2842
	ds_read_u16 v76, v21 offset:2744
	ds_read_u16 v54, v21 offset:2646
	ds_read_u16 v47, v21 offset:3528
	ds_read_u16 v50, v21 offset:3430
	ds_read_u16 v53, v21 offset:3332
	ds_read_u16 v46, v21 offset:4214
	ds_read_u16 v48, v21 offset:4116
	ds_read_u16 v43, v21 offset:4018
	ds_read_u16 v33, v25
	ds_read_u16 v34, v24
	ds_read_u16 v42, v21 offset:4704
	s_waitcnt lgkmcnt(0)
	; wave barrier
	s_waitcnt lgkmcnt(0)
	ds_write_b16 v166, v134
	ds_write_b16 v166, v150 offset:14
	ds_write_b16 v166, v137 offset:28
	;; [unrolled: 1-line block ×6, first 2 shown]
	v_add_f16_e32 v116, v114, v119
	v_sub_f16_e32 v114, v119, v114
	v_sub_f16_e32 v119, v115, v113
	v_add_f16_e32 v113, v113, v115
	v_sub_f16_e32 v115, v117, v118
	v_add_f16_e32 v117, v118, v117
	ds_write_b16 v5, v130
	ds_write_b16 v5, v115 offset:14
	ds_write_b16 v5, v119 offset:28
	ds_write_b16 v5, v116 offset:42
	ds_write_b16 v5, v114 offset:56
	ds_write_b16 v5, v113 offset:70
	ds_write_b16 v5, v117 offset:84
	v_add_f16_e32 v5, v107, v129
	v_add_f16_e32 v107, v109, v127
	v_sub_f16_e32 v106, v106, v126
	v_add_f16_e32 v109, v110, v112
	v_sub_f16_e32 v108, v111, v108
	v_add_f16_e32 v110, v107, v5
	v_sub_f16_e32 v105, v105, v128
	v_sub_f16_e32 v111, v107, v5
	v_sub_f16_e32 v5, v5, v109
	v_sub_f16_e32 v107, v109, v107
	v_add_f16_e32 v109, v109, v110
	v_add_f16_e32 v110, v108, v106
	v_sub_f16_e32 v112, v108, v106
	v_sub_f16_e32 v108, v105, v108
	v_sub_f16_e32 v106, v106, v105
	v_add_f16_e32 v105, v110, v105
	v_mul_f16_e32 v5, 0x3a52, v5
	v_mul_f16_e32 v110, 0x2b26, v107
	v_fma_f16 v107, v107, s14, v5
	v_fma_f16 v110, v111, s5, -v110
	v_fma_f16 v5, v111, s7, -v5
	v_mul_f16_e32 v111, 0x3846, v112
	v_mul_f16_e32 v112, 0xbb00, v106
	v_fma_f16 v106, v106, s6, -v111
	v_fma_f16 v111, v108, s11, v111
	v_fma_f16 v108, v108, s10, -v112
	v_add_f16_e32 v112, v147, v109
	v_fma_f16 v109, v109, s4, v112
	v_add_f16_e32 v107, v107, v109
	v_add_f16_e32 v110, v110, v109
	v_add_f16_e32 v5, v5, v109
	v_fma_f16 v109, v105, s0, v111
	v_fma_f16 v106, v105, s0, v106
	v_fma_f16 v105, v105, s0, v108
	v_add_f16_e32 v108, v106, v110
	v_sub_f16_e32 v106, v110, v106
	v_sub_f16_e32 v110, v5, v105
	v_add_f16_e32 v5, v105, v5
	v_sub_f16_e32 v105, v107, v109
	v_add_f16_e32 v107, v109, v107
	ds_write_b16 v168, v112
	ds_write_b16 v168, v105 offset:14
	ds_write_b16 v168, v110 offset:28
	ds_write_b16 v168, v108 offset:42
	ds_write_b16 v168, v106 offset:56
	ds_write_b16 v168, v5 offset:70
	ds_write_b16 v168, v107 offset:84
	v_add_f16_e32 v5, v99, v125
	v_add_f16_e32 v99, v101, v123
	v_sub_f16_e32 v98, v98, v122
	v_add_f16_e32 v101, v102, v104
	v_sub_f16_e32 v100, v103, v100
	v_add_f16_e32 v102, v99, v5
	v_sub_f16_e32 v97, v97, v124
	v_sub_f16_e32 v103, v99, v5
	v_sub_f16_e32 v5, v5, v101
	v_sub_f16_e32 v99, v101, v99
	v_add_f16_e32 v101, v101, v102
	v_add_f16_e32 v102, v100, v98
	v_sub_f16_e32 v104, v100, v98
	v_sub_f16_e32 v100, v97, v100
	v_sub_f16_e32 v98, v98, v97
	v_add_f16_e32 v97, v102, v97
	v_mul_f16_e32 v5, 0x3a52, v5
	v_mul_f16_e32 v102, 0x2b26, v99
	v_fma_f16 v99, v99, s14, v5
	v_fma_f16 v102, v103, s5, -v102
	v_fma_f16 v5, v103, s7, -v5
	v_mul_f16_e32 v103, 0x3846, v104
	v_mul_f16_e32 v104, 0xbb00, v98
	v_fma_f16 v98, v98, s6, -v103
	v_fma_f16 v103, v100, s11, v103
	v_fma_f16 v100, v100, s10, -v104
	v_add_f16_e32 v104, v146, v101
	v_fma_f16 v101, v101, s4, v104
	v_add_f16_e32 v99, v99, v101
	v_add_f16_e32 v102, v102, v101
	v_add_f16_e32 v5, v5, v101
	v_fma_f16 v101, v97, s0, v103
	v_fma_f16 v98, v97, s0, v98
	v_fma_f16 v97, v97, s0, v100
	;; [unrolled: 47-line block ×3, first 2 shown]
	v_add_f16_e32 v92, v90, v93
	v_sub_f16_e32 v90, v93, v90
	v_sub_f16_e32 v93, v5, v89
	v_add_f16_e32 v5, v89, v5
	v_sub_f16_e32 v89, v0, v91
	v_add_f16_e32 v0, v91, v0
	ds_write_b16 v161, v95
	ds_write_b16 v161, v89 offset:14
	ds_write_b16 v161, v93 offset:28
	;; [unrolled: 1-line block ×6, first 2 shown]
	v_add_f16_e32 v0, v83, v142
	v_sub_f16_e32 v5, v81, v141
	v_add_f16_e32 v81, v85, v140
	v_sub_f16_e32 v82, v82, v139
	;; [unrolled: 2-line block ×3, first 2 shown]
	v_add_f16_e32 v85, v81, v0
	v_add_f16_e32 v4, v8, v4
	;; [unrolled: 1-line block ×3, first 2 shown]
	v_sub_f16_e32 v86, v81, v0
	v_sub_f16_e32 v0, v0, v83
	;; [unrolled: 1-line block ×3, first 2 shown]
	v_add_f16_e32 v83, v83, v85
	v_add_f16_e32 v85, v84, v82
	v_sub_f16_e32 v3, v6, v3
	v_sub_f16_e32 v1, v7, v1
	v_add_f16_e32 v6, v65, v80
	v_sub_f16_e32 v7, v79, v9
	v_add_f16_e32 v8, v2, v4
	v_sub_f16_e32 v87, v84, v82
	v_sub_f16_e32 v84, v5, v84
	v_sub_f16_e32 v82, v82, v5
	v_add_f16_e32 v5, v85, v5
	v_mul_f16_e32 v0, 0x3a52, v0
	v_mul_f16_e32 v85, 0x2b26, v81
	v_sub_f16_e32 v9, v2, v4
	v_sub_f16_e32 v4, v4, v6
	;; [unrolled: 1-line block ×3, first 2 shown]
	v_add_f16_e32 v6, v6, v8
	v_add_f16_e32 v8, v7, v1
	v_fma_f16 v81, v81, s14, v0
	v_fma_f16 v85, v86, s5, -v85
	v_fma_f16 v0, v86, s7, -v0
	v_mul_f16_e32 v86, 0x3846, v87
	v_mul_f16_e32 v87, 0xbb00, v82
	v_sub_f16_e32 v10, v7, v1
	v_sub_f16_e32 v7, v3, v7
	;; [unrolled: 1-line block ×3, first 2 shown]
	v_add_f16_e32 v3, v8, v3
	v_mul_f16_e32 v4, 0x3a52, v4
	v_mul_f16_e32 v8, 0x2b26, v2
	v_fma_f16 v82, v82, s6, -v86
	v_fma_f16 v86, v84, s11, v86
	v_fma_f16 v84, v84, s10, -v87
	v_add_f16_e32 v87, v138, v83
	v_fma_f16 v2, v2, s14, v4
	v_fma_f16 v8, v9, s5, -v8
	v_fma_f16 v4, v9, s7, -v4
	v_mul_f16_e32 v9, 0x3846, v10
	v_mul_f16_e32 v10, 0xbb00, v1
	v_fma_f16 v83, v83, s4, v87
	v_fma_f16 v1, v1, s6, -v9
	v_fma_f16 v9, v7, s11, v9
	v_fma_f16 v7, v7, s10, -v10
	v_add_f16_e32 v10, v167, v6
	v_add_f16_e32 v81, v81, v83
	;; [unrolled: 1-line block ×4, first 2 shown]
	v_fma_f16 v83, v5, s0, v86
	v_fma_f16 v82, v5, s0, v82
	;; [unrolled: 1-line block ×4, first 2 shown]
	v_add_f16_e32 v84, v82, v85
	v_sub_f16_e32 v82, v85, v82
	v_sub_f16_e32 v85, v0, v5
	v_add_f16_e32 v0, v5, v0
	v_add_f16_e32 v2, v2, v6
	;; [unrolled: 1-line block ×4, first 2 shown]
	v_fma_f16 v6, v3, s0, v9
	v_fma_f16 v1, v3, s0, v1
	;; [unrolled: 1-line block ×3, first 2 shown]
	v_sub_f16_e32 v5, v81, v83
	v_add_f16_e32 v81, v83, v81
	v_add_f16_e32 v7, v1, v8
	v_sub_f16_e32 v1, v8, v1
	v_sub_f16_e32 v8, v4, v3
	v_add_f16_e32 v3, v3, v4
	v_sub_f16_e32 v4, v2, v6
	v_add_f16_e32 v2, v6, v2
	ds_write_b16 v152, v87
	ds_write_b16 v152, v5 offset:14
	ds_write_b16 v152, v85 offset:28
	;; [unrolled: 1-line block ×6, first 2 shown]
	ds_write_b16 v153, v10
	ds_write_b16 v153, v4 offset:14
	ds_write_b16 v153, v8 offset:28
	;; [unrolled: 1-line block ×6, first 2 shown]
	v_mul_u32_u24_e32 v0, 6, v14
	v_lshlrev_b32_e32 v10, 2, v0
	s_waitcnt lgkmcnt(0)
	; wave barrier
	s_waitcnt lgkmcnt(0)
	global_load_dwordx4 v[0:3], v10, s[8:9] offset:168
	v_mul_lo_u16_sdwa v4, v16, s15 dst_sel:DWORD dst_unused:UNUSED_PAD src0_sel:BYTE_0 src1_sel:DWORD
	v_sub_u16_sdwa v5, v16, v4 dst_sel:DWORD dst_unused:UNUSED_PAD src0_sel:DWORD src1_sel:BYTE_1
	v_lshrrev_b16_e32 v5, 1, v5
	v_and_b32_e32 v5, 0x7f, v5
	v_add_u16_sdwa v4, v5, v4 dst_sel:DWORD dst_unused:UNUSED_PAD src0_sel:DWORD src1_sel:BYTE_1
	v_lshrrev_b16_e32 v4, 5, v4
	v_mul_lo_u16_e32 v4, 49, v4
	v_sub_u16_e32 v4, v16, v4
	v_and_b32_e32 v65, 0xff, v4
	v_mul_u32_u24_e32 v4, 6, v65
	v_lshlrev_b32_e32 v86, 2, v4
	ds_read_u16 v85, v21 offset:686
	ds_read_u16 v84, v21 offset:784
	;; [unrolled: 1-line block ×7, first 2 shown]
	global_load_dwordx4 v[4:7], v86, s[8:9] offset:168
	global_load_dwordx2 v[8:9], v10, s[8:9] offset:184
	ds_read_u16 v87, v21
	ds_read_u16 v89, v21 offset:1372
	ds_read_u16 v93, v21 offset:1470
	;; [unrolled: 1-line block ×8, first 2 shown]
	s_waitcnt vmcnt(2) lgkmcnt(14)
	v_mul_f16_sdwa v88, v85, v0 dst_sel:DWORD dst_unused:UNUSED_PAD src0_sel:DWORD src1_sel:WORD_1
	v_fma_f16 v88, v78, v0, v88
	v_mul_f16_sdwa v78, v78, v0 dst_sel:DWORD dst_unused:UNUSED_PAD src0_sel:DWORD src1_sel:WORD_1
	v_fma_f16 v78, v85, v0, -v78
	s_waitcnt lgkmcnt(7)
	v_mul_f16_sdwa v85, v89, v1 dst_sel:DWORD dst_unused:UNUSED_PAD src0_sel:DWORD src1_sel:WORD_1
	v_fma_f16 v85, v75, v1, v85
	v_mul_f16_sdwa v75, v75, v1 dst_sel:DWORD dst_unused:UNUSED_PAD src0_sel:DWORD src1_sel:WORD_1
	v_fma_f16 v90, v89, v1, -v75
	s_waitcnt lgkmcnt(1)
	v_mul_f16_sdwa v75, v91, v2 dst_sel:DWORD dst_unused:UNUSED_PAD src0_sel:DWORD src1_sel:WORD_1
	v_fma_f16 v89, v77, v2, v75
	v_mul_lo_u16_sdwa v75, v17, s15 dst_sel:DWORD dst_unused:UNUSED_PAD src0_sel:BYTE_0 src1_sel:DWORD
	v_sub_u16_sdwa v92, v17, v75 dst_sel:DWORD dst_unused:UNUSED_PAD src0_sel:DWORD src1_sel:BYTE_1
	v_lshrrev_b16_e32 v92, 1, v92
	v_and_b32_e32 v92, 0x7f, v92
	v_add_u16_sdwa v75, v92, v75 dst_sel:DWORD dst_unused:UNUSED_PAD src0_sel:DWORD src1_sel:BYTE_1
	v_lshrrev_b16_e32 v75, 5, v75
	v_mul_lo_u16_e32 v75, 49, v75
	v_sub_u16_e32 v75, v17, v75
	v_and_b32_e32 v136, 0xff, v75
	v_mul_u32_u24_e32 v75, 6, v136
	v_lshlrev_b32_e32 v116, 2, v75
	ds_read_u16 v75, v21 offset:2744
	global_load_dwordx4 v[96:99], v116, s[8:9] offset:168
	v_mul_f16_sdwa v77, v77, v2 dst_sel:DWORD dst_unused:UNUSED_PAD src0_sel:DWORD src1_sel:WORD_1
	v_fma_f16 v91, v91, v2, -v77
	ds_read_u16 v77, v21 offset:2842
	ds_read_u16 v134, v21 offset:2646
	s_waitcnt lgkmcnt(2)
	v_mul_f16_sdwa v92, v75, v3 dst_sel:DWORD dst_unused:UNUSED_PAD src0_sel:DWORD src1_sel:WORD_1
	v_fma_f16 v92, v76, v3, v92
	v_mul_f16_sdwa v76, v76, v3 dst_sel:DWORD dst_unused:UNUSED_PAD src0_sel:DWORD src1_sel:WORD_1
	v_fma_f16 v94, v75, v3, -v76
	v_mul_lo_u16_sdwa v76, v18, s15 dst_sel:DWORD dst_unused:UNUSED_PAD src0_sel:BYTE_0 src1_sel:DWORD
	v_sub_u16_sdwa v95, v18, v76 dst_sel:DWORD dst_unused:UNUSED_PAD src0_sel:DWORD src1_sel:BYTE_1
	v_lshrrev_b16_e32 v95, 1, v95
	v_and_b32_e32 v95, 0x7f, v95
	v_add_u16_sdwa v76, v95, v76 dst_sel:DWORD dst_unused:UNUSED_PAD src0_sel:DWORD src1_sel:BYTE_1
	v_lshrrev_b16_e32 v76, 5, v76
	v_mul_f16_sdwa v75, v84, v0 dst_sel:DWORD dst_unused:UNUSED_PAD src0_sel:DWORD src1_sel:WORD_1
	v_mul_lo_u16_e32 v76, 49, v76
	v_sub_u16_e32 v76, v18, v76
	v_fma_f16 v75, v74, v0, v75
	v_mul_f16_sdwa v74, v74, v0 dst_sel:DWORD dst_unused:UNUSED_PAD src0_sel:DWORD src1_sel:WORD_1
	v_and_b32_e32 v76, 0xff, v76
	v_fma_f16 v84, v84, v0, -v74
	v_mul_f16_sdwa v0, v93, v1 dst_sel:DWORD dst_unused:UNUSED_PAD src0_sel:DWORD src1_sel:WORD_1
	v_mul_u32_u24_e32 v95, 6, v76
	v_fma_f16 v0, v73, v1, v0
	v_mul_f16_sdwa v73, v73, v1 dst_sel:DWORD dst_unused:UNUSED_PAD src0_sel:DWORD src1_sel:WORD_1
	s_movk_i32 s15, 0x4e5f
	v_lshlrev_b32_e32 v117, 2, v95
	v_fma_f16 v1, v93, v1, -v73
	v_mul_u32_u24_sdwa v73, v20, s15 dst_sel:DWORD dst_unused:UNUSED_PAD src0_sel:WORD_0 src1_sel:DWORD
	global_load_dwordx4 v[100:103], v117, s[8:9] offset:168
	v_sub_u16_sdwa v74, v20, v73 dst_sel:DWORD dst_unused:UNUSED_PAD src0_sel:DWORD src1_sel:WORD_1
	v_lshrrev_b16_e32 v74, 1, v74
	v_add_u16_sdwa v73, v74, v73 dst_sel:DWORD dst_unused:UNUSED_PAD src0_sel:DWORD src1_sel:WORD_1
	v_lshrrev_b16_e32 v73, 5, v73
	v_mul_lo_u16_e32 v73, 49, v73
	v_sub_u16_e32 v73, v20, v73
	v_mul_u32_u24_e32 v74, 6, v73
	v_lshlrev_b32_e32 v74, 2, v74
	global_load_dwordx4 v[104:107], v74, s[8:9] offset:168
	ds_read_u16 v95, v21 offset:2156
	ds_read_u16 v119, v21 offset:2254
	ds_read_u16 v120, v21 offset:2352
	ds_read_u16 v121, v21 offset:2450
	ds_read_u16 v135, v21 offset:2548
	s_waitcnt lgkmcnt(4)
	v_mul_f16_sdwa v93, v95, v2 dst_sel:DWORD dst_unused:UNUSED_PAD src0_sel:DWORD src1_sel:WORD_1
	v_fma_f16 v93, v71, v2, v93
	v_mul_f16_sdwa v71, v71, v2 dst_sel:DWORD dst_unused:UNUSED_PAD src0_sel:DWORD src1_sel:WORD_1
	v_fma_f16 v2, v95, v2, -v71
	v_mul_f16_sdwa v71, v77, v3 dst_sel:DWORD dst_unused:UNUSED_PAD src0_sel:DWORD src1_sel:WORD_1
	v_fma_f16 v95, v72, v3, v71
	v_mul_u32_u24_sdwa v71, v22, s15 dst_sel:DWORD dst_unused:UNUSED_PAD src0_sel:WORD_0 src1_sel:DWORD
	v_sub_u16_sdwa v108, v22, v71 dst_sel:DWORD dst_unused:UNUSED_PAD src0_sel:DWORD src1_sel:WORD_1
	v_lshrrev_b16_e32 v108, 1, v108
	v_add_u16_sdwa v71, v108, v71 dst_sel:DWORD dst_unused:UNUSED_PAD src0_sel:DWORD src1_sel:WORD_1
	v_lshrrev_b16_e32 v71, 5, v71
	v_mul_lo_u16_e32 v71, 49, v71
	v_sub_u16_e32 v71, v22, v71
	v_mul_u32_u24_e32 v108, 6, v71
	v_lshlrev_b32_e32 v137, 2, v108
	global_load_dwordx4 v[108:111], v137, s[8:9] offset:168
	global_load_dwordx2 v[112:113], v86, s[8:9] offset:184
	v_mul_f16_sdwa v72, v72, v3 dst_sel:DWORD dst_unused:UNUSED_PAD src0_sel:DWORD src1_sel:WORD_1
	v_fma_f16 v3, v77, v3, -v72
	s_waitcnt vmcnt(6)
	v_mul_f16_sdwa v72, v83, v4 dst_sel:DWORD dst_unused:UNUSED_PAD src0_sel:DWORD src1_sel:WORD_1
	v_fma_f16 v72, v70, v4, v72
	v_mul_f16_sdwa v70, v70, v4 dst_sel:DWORD dst_unused:UNUSED_PAD src0_sel:DWORD src1_sel:WORD_1
	v_fma_f16 v70, v83, v4, -v70
	v_mul_f16_sdwa v4, v114, v5 dst_sel:DWORD dst_unused:UNUSED_PAD src0_sel:DWORD src1_sel:WORD_1
	v_fma_f16 v77, v67, v5, v4
	v_mul_f16_sdwa v4, v67, v5 dst_sel:DWORD dst_unused:UNUSED_PAD src0_sel:DWORD src1_sel:WORD_1
	v_fma_f16 v145, v114, v5, -v4
	s_waitcnt lgkmcnt(3)
	v_mul_f16_sdwa v4, v119, v6 dst_sel:DWORD dst_unused:UNUSED_PAD src0_sel:DWORD src1_sel:WORD_1
	v_fma_f16 v146, v68, v6, v4
	v_mul_f16_sdwa v4, v68, v6 dst_sel:DWORD dst_unused:UNUSED_PAD src0_sel:DWORD src1_sel:WORD_1
	v_fma_f16 v68, v119, v6, -v4
	ds_read_u16 v4, v21 offset:2940
	ds_read_u16 v5, v21 offset:3038
	;; [unrolled: 1-line block ×8, first 2 shown]
	s_waitcnt lgkmcnt(7)
	v_mul_f16_sdwa v67, v4, v7 dst_sel:DWORD dst_unused:UNUSED_PAD src0_sel:DWORD src1_sel:WORD_1
	v_fma_f16 v147, v66, v7, v67
	v_mul_f16_sdwa v66, v66, v7 dst_sel:DWORD dst_unused:UNUSED_PAD src0_sel:DWORD src1_sel:WORD_1
	v_fma_f16 v148, v4, v7, -v66
	global_load_dwordx2 v[66:67], v116, s[8:9] offset:184
	v_lshl_add_u32 v136, v136, 1, 0
	v_lshl_add_u32 v160, v73, 1, 0
	;; [unrolled: 1-line block ×3, first 2 shown]
	s_waitcnt vmcnt(5)
	v_mul_f16_sdwa v4, v82, v96 dst_sel:DWORD dst_unused:UNUSED_PAD src0_sel:DWORD src1_sel:WORD_1
	v_fma_f16 v126, v69, v96, v4
	v_mul_f16_sdwa v4, v69, v96 dst_sel:DWORD dst_unused:UNUSED_PAD src0_sel:DWORD src1_sel:WORD_1
	v_fma_f16 v128, v82, v96, -v4
	v_mul_f16_sdwa v4, v115, v97 dst_sel:DWORD dst_unused:UNUSED_PAD src0_sel:DWORD src1_sel:WORD_1
	v_fma_f16 v127, v61, v97, v4
	v_mul_f16_sdwa v4, v61, v97 dst_sel:DWORD dst_unused:UNUSED_PAD src0_sel:DWORD src1_sel:WORD_1
	v_fma_f16 v130, v115, v97, -v4
	v_mul_f16_sdwa v4, v120, v98 dst_sel:DWORD dst_unused:UNUSED_PAD src0_sel:DWORD src1_sel:WORD_1
	v_fma_f16 v129, v62, v98, v4
	v_mul_f16_sdwa v4, v62, v98 dst_sel:DWORD dst_unused:UNUSED_PAD src0_sel:DWORD src1_sel:WORD_1
	global_load_dwordx2 v[61:62], v117, s[8:9] offset:184
	v_fma_f16 v131, v120, v98, -v4
	s_waitcnt lgkmcnt(6)
	v_mul_f16_sdwa v4, v5, v99 dst_sel:DWORD dst_unused:UNUSED_PAD src0_sel:DWORD src1_sel:WORD_1
	v_fma_f16 v132, v63, v99, v4
	v_mul_f16_sdwa v4, v63, v99 dst_sel:DWORD dst_unused:UNUSED_PAD src0_sel:DWORD src1_sel:WORD_1
	v_fma_f16 v133, v5, v99, -v4
	s_waitcnt vmcnt(5)
	v_mul_f16_sdwa v4, v81, v100 dst_sel:DWORD dst_unused:UNUSED_PAD src0_sel:DWORD src1_sel:WORD_1
	v_fma_f16 v114, v64, v100, v4
	v_mul_f16_sdwa v4, v64, v100 dst_sel:DWORD dst_unused:UNUSED_PAD src0_sel:DWORD src1_sel:WORD_1
	v_fma_f16 v117, v81, v100, -v4
	v_mul_f16_sdwa v4, v118, v101 dst_sel:DWORD dst_unused:UNUSED_PAD src0_sel:DWORD src1_sel:WORD_1
	v_fma_f16 v116, v57, v101, v4
	v_mul_f16_sdwa v4, v57, v101 dst_sel:DWORD dst_unused:UNUSED_PAD src0_sel:DWORD src1_sel:WORD_1
	v_fma_f16 v120, v118, v101, -v4
	;; [unrolled: 4-line block ×3, first 2 shown]
	s_waitcnt lgkmcnt(5)
	v_mul_f16_sdwa v4, v6, v103 dst_sel:DWORD dst_unused:UNUSED_PAD src0_sel:DWORD src1_sel:WORD_1
	v_fma_f16 v122, v59, v103, v4
	v_mul_f16_sdwa v4, v59, v103 dst_sel:DWORD dst_unused:UNUSED_PAD src0_sel:DWORD src1_sel:WORD_1
	v_fma_f16 v123, v6, v103, -v4
	s_waitcnt vmcnt(4)
	v_mul_f16_sdwa v4, v80, v104 dst_sel:DWORD dst_unused:UNUSED_PAD src0_sel:DWORD src1_sel:WORD_1
	v_fma_f16 v83, v60, v104, v4
	v_mul_f16_sdwa v4, v60, v104 dst_sel:DWORD dst_unused:UNUSED_PAD src0_sel:DWORD src1_sel:WORD_1
	v_fma_f16 v96, v80, v104, -v4
	v_mul_f16_sdwa v4, v124, v105 dst_sel:DWORD dst_unused:UNUSED_PAD src0_sel:DWORD src1_sel:WORD_1
	global_load_dwordx2 v[57:58], v74, s[8:9] offset:184
	v_fma_f16 v86, v49, v105, v4
	v_mul_f16_sdwa v4, v49, v105 dst_sel:DWORD dst_unused:UNUSED_PAD src0_sel:DWORD src1_sel:WORD_1
	v_fma_f16 v98, v124, v105, -v4
	v_mul_f16_sdwa v4, v135, v106 dst_sel:DWORD dst_unused:UNUSED_PAD src0_sel:DWORD src1_sel:WORD_1
	v_fma_f16 v97, v51, v106, v4
	v_mul_f16_sdwa v4, v51, v106 dst_sel:DWORD dst_unused:UNUSED_PAD src0_sel:DWORD src1_sel:WORD_1
	v_fma_f16 v99, v135, v106, -v4
	s_waitcnt lgkmcnt(4)
	v_mul_f16_sdwa v4, v138, v107 dst_sel:DWORD dst_unused:UNUSED_PAD src0_sel:DWORD src1_sel:WORD_1
	v_fma_f16 v100, v52, v107, v4
	v_mul_f16_sdwa v4, v52, v107 dst_sel:DWORD dst_unused:UNUSED_PAD src0_sel:DWORD src1_sel:WORD_1
	global_load_dwordx2 v[51:52], v137, s[8:9] offset:184
	s_waitcnt vmcnt(5)
	v_mul_f16_sdwa v49, v54, v110 dst_sel:DWORD dst_unused:UNUSED_PAD src0_sel:DWORD src1_sel:WORD_1
	v_fma_f16 v80, v134, v110, -v49
	s_waitcnt lgkmcnt(3)
	v_mul_f16_sdwa v49, v139, v111 dst_sel:DWORD dst_unused:UNUSED_PAD src0_sel:DWORD src1_sel:WORD_1
	v_fma_f16 v81, v53, v111, v49
	v_mul_f16_sdwa v49, v53, v111 dst_sel:DWORD dst_unused:UNUSED_PAD src0_sel:DWORD src1_sel:WORD_1
	v_mul_f16_sdwa v5, v56, v108 dst_sel:DWORD dst_unused:UNUSED_PAD src0_sel:DWORD src1_sel:WORD_1
	;; [unrolled: 1-line block ×3, first 2 shown]
	v_fma_f16 v82, v139, v111, -v49
	s_waitcnt lgkmcnt(0)
	v_mul_f16_sdwa v49, v142, v8 dst_sel:DWORD dst_unused:UNUSED_PAD src0_sel:DWORD src1_sel:WORD_1
	v_fma_f16 v101, v138, v107, -v4
	v_mul_f16_sdwa v4, v79, v108 dst_sel:DWORD dst_unused:UNUSED_PAD src0_sel:DWORD src1_sel:WORD_1
	v_fma_f16 v6, v79, v108, -v5
	;; [unrolled: 2-line block ×3, first 2 shown]
	v_mul_f16_sdwa v7, v134, v110 dst_sel:DWORD dst_unused:UNUSED_PAD src0_sel:DWORD src1_sel:WORD_1
	v_fma_f16 v115, v50, v8, v49
	v_mul_f16_sdwa v49, v50, v8 dst_sel:DWORD dst_unused:UNUSED_PAD src0_sel:DWORD src1_sel:WORD_1
	v_fma_f16 v5, v55, v109, v5
	v_fma_f16 v7, v54, v110, v7
	v_fma_f16 v118, v142, v8, -v49
	ds_read_u16 v49, v21 offset:4116
	ds_read_u16 v50, v21 offset:4214
	;; [unrolled: 1-line block ×5, first 2 shown]
	v_fma_f16 v4, v56, v108, v4
	s_waitcnt lgkmcnt(4)
	v_mul_f16_sdwa v56, v49, v9 dst_sel:DWORD dst_unused:UNUSED_PAD src0_sel:DWORD src1_sel:WORD_1
	v_fma_f16 v124, v48, v9, v56
	v_mul_f16_sdwa v48, v48, v9 dst_sel:DWORD dst_unused:UNUSED_PAD src0_sel:DWORD src1_sel:WORD_1
	v_fma_f16 v125, v49, v9, -v48
	v_mul_f16_sdwa v48, v141, v8 dst_sel:DWORD dst_unused:UNUSED_PAD src0_sel:DWORD src1_sel:WORD_1
	v_fma_f16 v105, v47, v8, v48
	v_mul_f16_sdwa v47, v47, v8 dst_sel:DWORD dst_unused:UNUSED_PAD src0_sel:DWORD src1_sel:WORD_1
	v_fma_f16 v106, v141, v8, -v47
	s_waitcnt lgkmcnt(3)
	v_mul_f16_sdwa v8, v50, v9 dst_sel:DWORD dst_unused:UNUSED_PAD src0_sel:DWORD src1_sel:WORD_1
	v_fma_f16 v108, v46, v9, v8
	v_mul_f16_sdwa v8, v46, v9 dst_sel:DWORD dst_unused:UNUSED_PAD src0_sel:DWORD src1_sel:WORD_1
	v_fma_f16 v110, v50, v9, -v8
	s_waitcnt vmcnt(4)
	v_mul_f16_sdwa v8, v140, v112 dst_sel:DWORD dst_unused:UNUSED_PAD src0_sel:DWORD src1_sel:WORD_1
	v_fma_f16 v46, v38, v112, v8
	v_mul_f16_sdwa v8, v38, v112 dst_sel:DWORD dst_unused:UNUSED_PAD src0_sel:DWORD src1_sel:WORD_1
	v_fma_f16 v38, v140, v112, -v8
	s_waitcnt lgkmcnt(2)
	v_mul_f16_sdwa v8, v53, v113 dst_sel:DWORD dst_unused:UNUSED_PAD src0_sel:DWORD src1_sel:WORD_1
	v_fma_f16 v47, v37, v113, v8
	ds_read_u16 v8, v21 offset:3724
	v_mul_f16_sdwa v9, v37, v113 dst_sel:DWORD dst_unused:UNUSED_PAD src0_sel:DWORD src1_sel:WORD_1
	v_fma_f16 v37, v53, v113, -v9
	ds_read_u16 v9, v21 offset:3822
	ds_read_u16 v48, v21 offset:3920
	v_sub_f16_e32 v53, v3, v2
	s_waitcnt vmcnt(3) lgkmcnt(2)
	v_mul_f16_sdwa v49, v8, v66 dst_sel:DWORD dst_unused:UNUSED_PAD src0_sel:DWORD src1_sel:WORD_1
	v_fma_f16 v141, v45, v66, v49
	v_mul_f16_sdwa v45, v45, v66 dst_sel:DWORD dst_unused:UNUSED_PAD src0_sel:DWORD src1_sel:WORD_1
	v_fma_f16 v142, v8, v66, -v45
	v_mul_f16_sdwa v8, v54, v67 dst_sel:DWORD dst_unused:UNUSED_PAD src0_sel:DWORD src1_sel:WORD_1
	v_fma_f16 v143, v36, v67, v8
	v_mul_f16_sdwa v8, v36, v67 dst_sel:DWORD dst_unused:UNUSED_PAD src0_sel:DWORD src1_sel:WORD_1
	v_fma_f16 v144, v54, v67, -v8
	s_waitcnt vmcnt(2) lgkmcnt(1)
	v_mul_f16_sdwa v8, v9, v61 dst_sel:DWORD dst_unused:UNUSED_PAD src0_sel:DWORD src1_sel:WORD_1
	v_fma_f16 v135, v44, v61, v8
	v_mul_f16_sdwa v8, v44, v61 dst_sel:DWORD dst_unused:UNUSED_PAD src0_sel:DWORD src1_sel:WORD_1
	v_fma_f16 v137, v9, v61, -v8
	ds_read_u16 v8, v21 offset:4508
	ds_read_u16 v36, v21 offset:4606
	ds_read_u16 v44, v21 offset:4704
	ds_read_u16 v140, v26
	ds_read_u16 v134, v27
	;; [unrolled: 1-line block ×5, first 2 shown]
	s_waitcnt lgkmcnt(7)
	v_mul_f16_sdwa v49, v8, v62 dst_sel:DWORD dst_unused:UNUSED_PAD src0_sel:DWORD src1_sel:WORD_1
	v_fma_f16 v138, v41, v62, v49
	v_mul_f16_sdwa v41, v41, v62 dst_sel:DWORD dst_unused:UNUSED_PAD src0_sel:DWORD src1_sel:WORD_1
	v_fma_f16 v139, v8, v62, -v41
	v_add_f16_e32 v56, v145, v38
	v_add_f16_e32 v59, v68, v148
	v_sub_f16_e32 v38, v145, v38
	v_sub_f16_e32 v60, v148, v68
	;; [unrolled: 1-line block ×4, first 2 shown]
	s_waitcnt vmcnt(1)
	v_mul_f16_sdwa v8, v48, v57 dst_sel:DWORD dst_unused:UNUSED_PAD src0_sel:DWORD src1_sel:WORD_1
	v_fma_f16 v107, v40, v57, v8
	v_mul_f16_sdwa v8, v40, v57 dst_sel:DWORD dst_unused:UNUSED_PAD src0_sel:DWORD src1_sel:WORD_1
	v_fma_f16 v109, v48, v57, -v8
	s_waitcnt lgkmcnt(6)
	v_mul_f16_sdwa v8, v36, v58 dst_sel:DWORD dst_unused:UNUSED_PAD src0_sel:DWORD src1_sel:WORD_1
	v_fma_f16 v111, v39, v58, v8
	v_mul_f16_sdwa v8, v39, v58 dst_sel:DWORD dst_unused:UNUSED_PAD src0_sel:DWORD src1_sel:WORD_1
	v_fma_f16 v112, v36, v58, -v8
	v_add_f16_e32 v39, v85, v115
	v_add_f16_e32 v40, v89, v92
	;; [unrolled: 1-line block ×3, first 2 shown]
	s_waitcnt vmcnt(0)
	v_mul_f16_sdwa v36, v43, v51 dst_sel:DWORD dst_unused:UNUSED_PAD src0_sel:DWORD src1_sel:WORD_1
	v_fma_f16 v102, v55, v51, -v36
	s_waitcnt lgkmcnt(5)
	v_mul_f16_sdwa v36, v44, v52 dst_sel:DWORD dst_unused:UNUSED_PAD src0_sel:DWORD src1_sel:WORD_1
	v_fma_f16 v103, v42, v52, v36
	v_mul_f16_sdwa v36, v42, v52 dst_sel:DWORD dst_unused:UNUSED_PAD src0_sel:DWORD src1_sel:WORD_1
	v_mul_f16_sdwa v8, v55, v51 dst_sel:DWORD dst_unused:UNUSED_PAD src0_sel:DWORD src1_sel:WORD_1
	v_fma_f16 v104, v44, v52, -v36
	v_add_f16_e32 v36, v88, v124
	v_fma_f16 v8, v43, v51, v8
	v_add_f16_e32 v41, v39, v36
	v_sub_f16_e32 v43, v90, v118
	v_sub_f16_e32 v44, v94, v91
	;; [unrolled: 1-line block ×5, first 2 shown]
	v_add_f16_e32 v40, v40, v41
	v_sub_f16_e32 v41, v78, v125
	v_add_f16_e32 v48, v44, v43
	v_sub_f16_e32 v49, v44, v43
	v_sub_f16_e32 v44, v41, v44
	;; [unrolled: 1-line block ×3, first 2 shown]
	v_add_f16_e32 v41, v48, v41
	v_mul_f16_e32 v36, 0x3a52, v36
	v_mul_f16_e32 v48, 0x2b26, v39
	v_fma_f16 v39, v39, s14, v36
	v_fma_f16 v48, v42, s5, -v48
	v_fma_f16 v36, v42, s7, -v36
	v_mul_f16_e32 v42, 0x3846, v49
	v_mul_f16_e32 v49, 0xbb00, v43
	v_add_f16_e32 v35, v35, v40
	v_fma_f16 v43, v43, s6, -v42
	v_fma_f16 v42, v44, s11, v42
	v_fma_f16 v44, v44, s10, -v49
	v_fma_f16 v40, v40, s4, v35
	v_add_f16_e32 v39, v39, v40
	v_add_f16_e32 v48, v48, v40
	;; [unrolled: 1-line block ×3, first 2 shown]
	v_fma_f16 v40, v41, s0, v42
	v_fma_f16 v42, v41, s0, v43
	;; [unrolled: 1-line block ×3, first 2 shown]
	v_sub_f16_e32 v43, v48, v42
	v_add_f16_e32 v42, v42, v48
	v_add_f16_e32 v44, v41, v36
	v_sub_f16_e32 v36, v36, v41
	v_add_f16_e32 v41, v40, v39
	v_sub_f16_e32 v39, v39, v40
	v_add_f16_e32 v40, v75, v108
	v_add_f16_e32 v48, v0, v105
	;; [unrolled: 1-line block ×4, first 2 shown]
	v_sub_f16_e32 v52, v1, v106
	v_sub_f16_e32 v51, v48, v40
	;; [unrolled: 1-line block ×4, first 2 shown]
	v_add_f16_e32 v49, v49, v50
	v_sub_f16_e32 v50, v84, v110
	v_add_f16_e32 v54, v53, v52
	v_sub_f16_e32 v55, v53, v52
	v_sub_f16_e32 v53, v50, v53
	;; [unrolled: 1-line block ×3, first 2 shown]
	v_add_f16_e32 v50, v54, v50
	v_mul_f16_e32 v40, 0x3a52, v40
	v_mul_f16_e32 v54, 0x2b26, v48
	v_fma_f16 v48, v48, s14, v40
	v_fma_f16 v54, v51, s5, -v54
	v_fma_f16 v40, v51, s7, -v40
	v_mul_f16_e32 v51, 0x3846, v55
	v_mul_f16_e32 v55, 0xbb00, v52
	v_add_f16_e32 v34, v34, v49
	v_fma_f16 v52, v52, s6, -v51
	v_fma_f16 v51, v53, s11, v51
	v_fma_f16 v53, v53, s10, -v55
	v_fma_f16 v49, v49, s4, v34
	v_add_f16_e32 v48, v48, v49
	v_add_f16_e32 v54, v54, v49
	;; [unrolled: 1-line block ×3, first 2 shown]
	v_fma_f16 v49, v50, s0, v51
	v_fma_f16 v51, v50, s0, v52
	v_fma_f16 v50, v50, s0, v53
	v_add_f16_e32 v53, v50, v40
	v_sub_f16_e32 v40, v40, v50
	v_add_f16_e32 v50, v49, v48
	v_sub_f16_e32 v48, v48, v49
	v_add_f16_e32 v49, v72, v47
	v_add_f16_e32 v55, v77, v46
	v_sub_f16_e32 v52, v54, v51
	v_add_f16_e32 v51, v51, v54
	v_add_f16_e32 v54, v70, v37
	v_add_f16_e32 v61, v55, v49
	v_sub_f16_e32 v46, v77, v46
	v_sub_f16_e32 v58, v147, v146
	;; [unrolled: 1-line block ×5, first 2 shown]
	v_add_f16_e32 v57, v57, v61
	v_add_f16_e32 v61, v56, v54
	v_sub_f16_e32 v47, v72, v47
	v_sub_f16_e32 v63, v56, v54
	;; [unrolled: 1-line block ×4, first 2 shown]
	v_add_f16_e32 v59, v59, v61
	v_add_f16_e32 v61, v58, v46
	v_sub_f16_e32 v37, v70, v37
	v_sub_f16_e32 v64, v58, v46
	;; [unrolled: 1-line block ×4, first 2 shown]
	v_add_f16_e32 v47, v61, v47
	v_add_f16_e32 v61, v60, v38
	v_sub_f16_e32 v60, v37, v60
	v_sub_f16_e32 v38, v38, v37
	v_add_f16_e32 v37, v61, v37
	v_mul_f16_e32 v49, 0x3a52, v49
	v_mul_f16_e32 v61, 0x2b26, v55
	v_fma_f16 v55, v55, s14, v49
	v_fma_f16 v61, v62, s5, -v61
	v_fma_f16 v49, v62, s7, -v49
	v_mul_f16_e32 v54, 0x3a52, v54
	v_mul_f16_e32 v62, 0x2b26, v56
	v_fma_f16 v56, v56, s14, v54
	v_fma_f16 v62, v63, s5, -v62
	v_fma_f16 v54, v63, s7, -v54
	v_mul_f16_e32 v63, 0x3846, v64
	v_mul_f16_e32 v64, 0xbb00, v46
	v_fma_f16 v46, v46, s6, -v63
	v_fma_f16 v63, v58, s11, v63
	v_fma_f16 v58, v58, s10, -v64
	v_mul_f16_e32 v64, 0x3846, v66
	v_mul_f16_e32 v66, 0xbb00, v38
	v_add_f16_e32 v33, v33, v57
	s_waitcnt lgkmcnt(1)
	v_add_f16_e32 v145, v45, v59
	v_fma_f16 v38, v38, s6, -v64
	v_fma_f16 v64, v60, s11, v64
	v_fma_f16 v60, v60, s10, -v66
	v_fma_f16 v57, v57, s4, v33
	v_fma_f16 v45, v59, s4, v145
	v_add_f16_e32 v55, v55, v57
	v_add_f16_e32 v61, v61, v57
	;; [unrolled: 1-line block ×6, first 2 shown]
	v_fma_f16 v54, v47, s0, v63
	v_fma_f16 v46, v47, s0, v46
	;; [unrolled: 1-line block ×6, first 2 shown]
	v_add_f16_e32 v146, v46, v57
	v_sub_f16_e32 v147, v57, v46
	v_add_f16_e32 v46, v37, v49
	v_sub_f16_e32 v37, v49, v37
	v_sub_f16_e32 v150, v56, v54
	v_add_f16_e32 v151, v54, v56
	v_add_f16_e32 v49, v126, v143
	;; [unrolled: 1-line block ×3, first 2 shown]
	v_sub_f16_e32 v148, v45, v47
	v_add_f16_e32 v149, v47, v45
	v_add_f16_e32 v45, v58, v55
	v_sub_f16_e32 v47, v55, v58
	v_add_f16_e32 v55, v129, v132
	v_add_f16_e32 v56, v54, v49
	v_sub_f16_e32 v58, v130, v142
	v_sub_f16_e32 v60, v133, v131
	;; [unrolled: 1-line block ×3, first 2 shown]
	v_add_f16_e32 v38, v38, v61
	v_sub_f16_e32 v57, v54, v49
	v_sub_f16_e32 v49, v49, v55
	;; [unrolled: 1-line block ×3, first 2 shown]
	v_add_f16_e32 v55, v55, v56
	v_sub_f16_e32 v56, v128, v144
	v_add_f16_e32 v61, v60, v58
	v_sub_f16_e32 v62, v60, v58
	v_sub_f16_e32 v60, v56, v60
	;; [unrolled: 1-line block ×3, first 2 shown]
	v_add_f16_e32 v56, v61, v56
	v_mul_f16_e32 v49, 0x3a52, v49
	v_mul_f16_e32 v61, 0x2b26, v54
	v_fma_f16 v54, v54, s14, v49
	v_fma_f16 v61, v57, s5, -v61
	v_fma_f16 v49, v57, s7, -v49
	v_mul_f16_e32 v57, 0x3846, v62
	v_mul_f16_e32 v62, 0xbb00, v58
	v_add_f16_e32 v32, v32, v55
	v_fma_f16 v58, v58, s6, -v57
	v_fma_f16 v57, v60, s11, v57
	v_fma_f16 v60, v60, s10, -v62
	v_fma_f16 v55, v55, s4, v32
	v_add_f16_e32 v54, v54, v55
	v_add_f16_e32 v61, v61, v55
	;; [unrolled: 1-line block ×3, first 2 shown]
	v_fma_f16 v55, v56, s0, v57
	v_fma_f16 v57, v56, s0, v58
	;; [unrolled: 1-line block ×3, first 2 shown]
	v_sub_f16_e32 v58, v61, v57
	v_add_f16_e32 v57, v57, v61
	v_add_f16_e32 v60, v56, v49
	v_sub_f16_e32 v49, v49, v56
	v_add_f16_e32 v56, v55, v54
	v_sub_f16_e32 v54, v54, v55
	v_add_f16_e32 v55, v114, v138
	v_add_f16_e32 v61, v116, v135
	;; [unrolled: 1-line block ×4, first 2 shown]
	v_sub_f16_e32 v66, v120, v137
	v_sub_f16_e32 v64, v61, v55
	;; [unrolled: 1-line block ×4, first 2 shown]
	v_add_f16_e32 v62, v62, v63
	v_sub_f16_e32 v63, v117, v139
	v_add_f16_e32 v68, v67, v66
	v_sub_f16_e32 v69, v67, v66
	v_sub_f16_e32 v67, v63, v67
	;; [unrolled: 1-line block ×3, first 2 shown]
	v_add_f16_e32 v63, v68, v63
	v_mul_f16_e32 v55, 0x3a52, v55
	v_mul_f16_e32 v68, 0x2b26, v61
	v_fma_f16 v61, v61, s14, v55
	v_fma_f16 v68, v64, s5, -v68
	v_fma_f16 v55, v64, s7, -v55
	v_mul_f16_e32 v64, 0x3846, v69
	v_mul_f16_e32 v69, 0xbb00, v66
	v_add_f16_e32 v31, v31, v62
	v_fma_f16 v66, v66, s6, -v64
	v_fma_f16 v64, v67, s11, v64
	v_fma_f16 v67, v67, s10, -v69
	v_fma_f16 v62, v62, s4, v31
	v_add_f16_e32 v61, v61, v62
	v_add_f16_e32 v68, v68, v62
	;; [unrolled: 1-line block ×3, first 2 shown]
	v_fma_f16 v62, v63, s0, v64
	v_fma_f16 v64, v63, s0, v66
	;; [unrolled: 1-line block ×3, first 2 shown]
	v_sub_f16_e32 v66, v68, v64
	v_add_f16_e32 v64, v64, v68
	v_add_f16_e32 v67, v63, v55
	v_sub_f16_e32 v55, v55, v63
	v_add_f16_e32 v63, v62, v61
	v_sub_f16_e32 v61, v61, v62
	v_add_f16_e32 v62, v83, v111
	v_add_f16_e32 v68, v86, v107
	;; [unrolled: 1-line block ×4, first 2 shown]
	v_sub_f16_e32 v74, v98, v109
	v_sub_f16_e32 v77, v101, v99
	;; [unrolled: 1-line block ×5, first 2 shown]
	v_add_f16_e32 v69, v69, v70
	v_sub_f16_e32 v70, v96, v112
	v_add_f16_e32 v152, v77, v74
	v_sub_f16_e32 v153, v77, v74
	v_sub_f16_e32 v77, v70, v77
	;; [unrolled: 1-line block ×3, first 2 shown]
	v_add_f16_e32 v70, v152, v70
	v_mul_f16_e32 v62, 0x3a52, v62
	v_mul_f16_e32 v152, 0x2b26, v68
	v_fma_f16 v68, v68, s14, v62
	v_fma_f16 v152, v72, s5, -v152
	v_fma_f16 v62, v72, s7, -v62
	v_mul_f16_e32 v72, 0x3846, v153
	v_mul_f16_e32 v153, 0xbb00, v74
	v_add_f16_e32 v30, v30, v69
	v_fma_f16 v74, v74, s6, -v72
	v_fma_f16 v72, v77, s11, v72
	v_fma_f16 v77, v77, s10, -v153
	v_fma_f16 v69, v69, s4, v30
	v_add_f16_e32 v68, v68, v69
	v_add_f16_e32 v152, v152, v69
	;; [unrolled: 1-line block ×3, first 2 shown]
	v_fma_f16 v69, v70, s0, v72
	v_fma_f16 v72, v70, s0, v74
	;; [unrolled: 1-line block ×3, first 2 shown]
	v_sub_f16_e32 v74, v152, v72
	v_add_f16_e32 v72, v72, v152
	v_add_f16_e32 v77, v70, v62
	v_sub_f16_e32 v62, v62, v70
	v_add_f16_e32 v70, v69, v68
	v_sub_f16_e32 v68, v68, v69
	v_add_f16_e32 v69, v4, v103
	v_add_f16_e32 v152, v5, v8
	v_add_f16_e32 v153, v7, v81
	v_add_f16_e32 v154, v152, v69
	v_sub_f16_e32 v156, v79, v102
	v_sub_f16_e32 v157, v82, v80
	;; [unrolled: 1-line block ×5, first 2 shown]
	v_add_f16_e32 v153, v153, v154
	v_sub_f16_e32 v154, v6, v104
	v_add_f16_e32 v158, v157, v156
	v_sub_f16_e32 v159, v157, v156
	v_sub_f16_e32 v157, v154, v157
	;; [unrolled: 1-line block ×3, first 2 shown]
	v_add_f16_e32 v154, v158, v154
	v_mul_f16_e32 v69, 0x3a52, v69
	v_mul_f16_e32 v158, 0x2b26, v152
	v_fma_f16 v152, v152, s14, v69
	v_fma_f16 v158, v155, s5, -v158
	v_fma_f16 v69, v155, s7, -v69
	v_mul_f16_e32 v155, 0x3846, v159
	v_mul_f16_e32 v159, 0xbb00, v156
	v_add_f16_e32 v11, v11, v153
	v_fma_f16 v156, v156, s6, -v155
	v_fma_f16 v155, v157, s11, v155
	v_fma_f16 v157, v157, s10, -v159
	v_fma_f16 v153, v153, s4, v11
	v_add_f16_e32 v152, v152, v153
	v_add_f16_e32 v158, v158, v153
	;; [unrolled: 1-line block ×3, first 2 shown]
	v_fma_f16 v153, v154, s0, v155
	v_fma_f16 v155, v154, s0, v156
	;; [unrolled: 1-line block ×3, first 2 shown]
	v_sub_f16_e32 v156, v158, v155
	v_add_f16_e32 v155, v155, v158
	v_add_f16_e32 v157, v154, v69
	v_sub_f16_e32 v69, v69, v154
	v_lshl_add_u32 v158, v65, 1, 0
	v_lshl_add_u32 v159, v76, 1, 0
	v_add_f16_e32 v154, v153, v152
	v_sub_f16_e32 v152, v152, v153
	ds_read_u16 v153, v29
	s_waitcnt lgkmcnt(0)
	; wave barrier
	s_waitcnt lgkmcnt(0)
	ds_write_b16 v21, v35
	ds_write_b16 v21, v41 offset:98
	ds_write_b16 v21, v44 offset:196
	ds_write_b16 v21, v43 offset:294
	ds_write_b16 v21, v42 offset:392
	ds_write_b16 v21, v36 offset:490
	ds_write_b16 v21, v39 offset:588
	ds_write_b16 v21, v34 offset:686
	ds_write_b16 v21, v50 offset:784
	ds_write_b16 v21, v53 offset:882
	ds_write_b16 v21, v52 offset:980
	ds_write_b16 v21, v51 offset:1078
	ds_write_b16 v21, v40 offset:1176
	ds_write_b16 v21, v48 offset:1274
	ds_write_b16 v158, v33 offset:1372
	ds_write_b16 v158, v45 offset:1470
	ds_write_b16 v158, v46 offset:1568
	ds_write_b16 v158, v59 offset:1666
	ds_write_b16 v158, v38 offset:1764
	ds_write_b16 v158, v37 offset:1862
	ds_write_b16 v158, v47 offset:1960
	ds_write_b16 v136, v32 offset:2058
	ds_write_b16 v136, v56 offset:2156
	ds_write_b16 v136, v60 offset:2254
	ds_write_b16 v136, v58 offset:2352
	ds_write_b16 v136, v57 offset:2450
	ds_write_b16 v136, v49 offset:2548
	ds_write_b16 v136, v54 offset:2646
	ds_write_b16 v159, v31 offset:2744
	ds_write_b16 v159, v63 offset:2842
	ds_write_b16 v159, v67 offset:2940
	ds_write_b16 v159, v66 offset:3038
	ds_write_b16 v159, v64 offset:3136
	ds_write_b16 v159, v55 offset:3234
	ds_write_b16 v159, v61 offset:3332
	ds_write_b16 v160, v30 offset:3430
	ds_write_b16 v160, v70 offset:3528
	ds_write_b16 v160, v77 offset:3626
	ds_write_b16 v160, v74 offset:3724
	ds_write_b16 v160, v72 offset:3822
	ds_write_b16 v160, v62 offset:3920
	ds_write_b16 v160, v68 offset:4018
	ds_write_b16 v161, v11 offset:4116
	ds_write_b16 v161, v154 offset:4214
	ds_write_b16 v161, v157 offset:4312
	ds_write_b16 v161, v156 offset:4410
	ds_write_b16 v161, v155 offset:4508
	ds_write_b16 v161, v69 offset:4606
	ds_write_b16 v161, v152 offset:4704
	s_waitcnt lgkmcnt(0)
	; wave barrier
	s_waitcnt lgkmcnt(0)
	ds_read_u16 v70, v29
	ds_read_u16 v42, v21 offset:3626
	ds_read_u16 v44, v21 offset:4312
	ds_read_u16 v51, v21 offset:4410
	ds_read_u16 v49, v26
	ds_read_u16 v56, v27
	ds_read_u16 v63, v28
	ds_read_u16 v29, v21 offset:1372
	ds_read_u16 v35, v21 offset:1470
	;; [unrolled: 1-line block ×20, first 2 shown]
	ds_read_u16 v11, v21
	ds_read_u16 v30, v21 offset:686
	ds_read_u16 v39, v21 offset:784
	;; [unrolled: 1-line block ×18, first 2 shown]
	ds_read_u16 v45, v25
	ds_read_u16 v37, v24
	ds_read_u16 v77, v21 offset:4704
	v_add_f16_e32 v128, v128, v144
	v_add_f16_e32 v130, v130, v142
	v_sub_f16_e32 v127, v127, v141
	v_add_f16_e32 v131, v131, v133
	v_sub_f16_e32 v129, v132, v129
	v_add_f16_e32 v132, v130, v128
	v_sub_f16_e32 v126, v126, v143
	v_sub_f16_e32 v133, v130, v128
	v_sub_f16_e32 v128, v128, v131
	;; [unrolled: 1-line block ×3, first 2 shown]
	v_add_f16_e32 v131, v131, v132
	v_add_f16_e32 v132, v129, v127
	v_sub_f16_e32 v141, v129, v127
	v_sub_f16_e32 v129, v126, v129
	;; [unrolled: 1-line block ×3, first 2 shown]
	v_add_f16_e32 v126, v132, v126
	v_mul_f16_e32 v128, 0x3a52, v128
	v_mul_f16_e32 v132, 0x2b26, v130
	v_fma_f16 v130, v130, s14, v128
	v_fma_f16 v132, v133, s5, -v132
	v_fma_f16 v128, v133, s7, -v128
	v_mul_f16_e32 v133, 0x3846, v141
	v_mul_f16_e32 v141, 0xbb00, v127
	v_add_f16_e32 v140, v140, v131
	v_fma_f16 v127, v127, s6, -v133
	v_fma_f16 v133, v129, s11, v133
	v_fma_f16 v129, v129, s10, -v141
	v_fma_f16 v131, v131, s4, v140
	v_add_f16_e32 v117, v117, v139
	v_add_f16_e32 v120, v120, v137
	;; [unrolled: 1-line block ×5, first 2 shown]
	v_fma_f16 v131, v126, s0, v133
	v_fma_f16 v127, v126, s0, v127
	;; [unrolled: 1-line block ×3, first 2 shown]
	v_sub_f16_e32 v116, v116, v135
	v_add_f16_e32 v121, v121, v123
	v_sub_f16_e32 v119, v122, v119
	v_add_f16_e32 v122, v120, v117
	v_add_f16_e32 v129, v127, v132
	v_sub_f16_e32 v127, v132, v127
	v_sub_f16_e32 v132, v128, v126
	v_add_f16_e32 v126, v126, v128
	v_sub_f16_e32 v114, v114, v138
	v_sub_f16_e32 v123, v120, v117
	;; [unrolled: 1-line block ×4, first 2 shown]
	v_add_f16_e32 v121, v121, v122
	v_add_f16_e32 v122, v119, v116
	s_waitcnt lgkmcnt(0)
	; wave barrier
	s_waitcnt lgkmcnt(0)
	ds_write_b16 v158, v145 offset:1372
	ds_write_b16 v158, v150 offset:1470
	;; [unrolled: 1-line block ×7, first 2 shown]
	v_sub_f16_e32 v128, v130, v131
	v_add_f16_e32 v130, v131, v130
	ds_write_b16 v136, v140 offset:2058
	ds_write_b16 v136, v128 offset:2156
	;; [unrolled: 1-line block ×7, first 2 shown]
	v_sub_f16_e32 v126, v119, v116
	v_sub_f16_e32 v119, v114, v119
	;; [unrolled: 1-line block ×3, first 2 shown]
	v_add_f16_e32 v114, v122, v114
	v_mul_f16_e32 v117, 0x3a52, v117
	v_mul_f16_e32 v122, 0x2b26, v120
	v_fma_f16 v120, v120, s14, v117
	v_fma_f16 v122, v123, s5, -v122
	v_fma_f16 v117, v123, s7, -v117
	v_mul_f16_e32 v123, 0x3846, v126
	v_mul_f16_e32 v126, 0xbb00, v116
	v_fma_f16 v116, v116, s6, -v123
	v_fma_f16 v123, v119, s11, v123
	v_fma_f16 v119, v119, s10, -v126
	v_add_f16_e32 v126, v134, v121
	v_fma_f16 v121, v121, s4, v126
	v_add_f16_e32 v78, v78, v125
	v_add_f16_e32 v90, v90, v118
	v_add_f16_e32 v120, v120, v121
	v_add_f16_e32 v122, v122, v121
	v_add_f16_e32 v117, v117, v121
	v_fma_f16 v121, v114, s0, v123
	v_fma_f16 v116, v114, s0, v116
	;; [unrolled: 1-line block ×3, first 2 shown]
	v_sub_f16_e32 v85, v85, v115
	v_add_f16_e32 v91, v91, v94
	v_sub_f16_e32 v89, v92, v89
	v_add_f16_e32 v92, v90, v78
	v_add_f16_e32 v119, v116, v122
	v_sub_f16_e32 v116, v122, v116
	v_sub_f16_e32 v122, v117, v114
	v_add_f16_e32 v114, v114, v117
	v_sub_f16_e32 v88, v88, v124
	v_sub_f16_e32 v94, v90, v78
	;; [unrolled: 1-line block ×4, first 2 shown]
	v_add_f16_e32 v91, v91, v92
	v_add_f16_e32 v92, v89, v85
	v_sub_f16_e32 v117, v120, v121
	v_add_f16_e32 v120, v121, v120
	ds_write_b16 v159, v126 offset:2744
	ds_write_b16 v159, v117 offset:2842
	;; [unrolled: 1-line block ×7, first 2 shown]
	v_sub_f16_e32 v114, v89, v85
	v_sub_f16_e32 v89, v88, v89
	;; [unrolled: 1-line block ×3, first 2 shown]
	v_add_f16_e32 v88, v92, v88
	v_mul_f16_e32 v78, 0x3a52, v78
	v_mul_f16_e32 v92, 0x2b26, v90
	v_fma_f16 v90, v90, s14, v78
	v_fma_f16 v92, v94, s5, -v92
	v_fma_f16 v78, v94, s7, -v78
	v_mul_f16_e32 v94, 0x3846, v114
	v_mul_f16_e32 v114, 0xbb00, v85
	v_add_f16_e32 v87, v87, v91
	v_fma_f16 v85, v85, s6, -v94
	v_fma_f16 v94, v89, s11, v94
	v_fma_f16 v89, v89, s10, -v114
	v_fma_f16 v91, v91, s4, v87
	v_add_f16_e32 v90, v90, v91
	v_add_f16_e32 v92, v92, v91
	;; [unrolled: 1-line block ×3, first 2 shown]
	v_fma_f16 v91, v88, s0, v94
	v_fma_f16 v85, v88, s0, v85
	v_fma_f16 v88, v88, s0, v89
	v_add_f16_e32 v84, v84, v110
	v_add_f16_e32 v1, v1, v106
	;; [unrolled: 1-line block ×3, first 2 shown]
	v_sub_f16_e32 v85, v92, v85
	v_sub_f16_e32 v92, v78, v88
	v_add_f16_e32 v78, v88, v78
	v_sub_f16_e32 v88, v90, v91
	v_add_f16_e32 v90, v91, v90
	;; [unrolled: 2-line block ×4, first 2 shown]
	v_sub_f16_e32 v75, v75, v108
	v_sub_f16_e32 v93, v1, v84
	;; [unrolled: 1-line block ×4, first 2 shown]
	v_add_f16_e32 v2, v2, v91
	v_add_f16_e32 v91, v3, v0
	v_sub_f16_e32 v94, v3, v0
	v_sub_f16_e32 v3, v75, v3
	v_sub_f16_e32 v0, v0, v75
	v_add_f16_e32 v75, v91, v75
	v_mul_f16_e32 v84, 0x3a52, v84
	v_mul_f16_e32 v91, 0x2b26, v1
	v_fma_f16 v1, v1, s14, v84
	v_fma_f16 v91, v93, s5, -v91
	v_fma_f16 v84, v93, s7, -v84
	v_mul_f16_e32 v93, 0x3846, v94
	v_mul_f16_e32 v94, 0xbb00, v0
	v_fma_f16 v0, v0, s6, -v93
	v_fma_f16 v93, v3, s11, v93
	v_fma_f16 v3, v3, s10, -v94
	v_add_f16_e32 v94, v113, v2
	v_fma_f16 v2, v2, s4, v94
	v_add_f16_e32 v1, v1, v2
	v_add_f16_e32 v91, v91, v2
	;; [unrolled: 1-line block ×3, first 2 shown]
	v_fma_f16 v84, v75, s0, v93
	v_fma_f16 v0, v75, s0, v0
	;; [unrolled: 1-line block ×3, first 2 shown]
	v_add_f16_e32 v6, v6, v104
	v_add_f16_e32 v79, v79, v102
	;; [unrolled: 1-line block ×3, first 2 shown]
	v_sub_f16_e32 v0, v91, v0
	v_sub_f16_e32 v91, v2, v3
	v_add_f16_e32 v2, v3, v2
	v_sub_f16_e32 v3, v1, v84
	v_add_f16_e32 v1, v84, v1
	v_add_f16_e32 v84, v96, v112
	;; [unrolled: 1-line block ×3, first 2 shown]
	v_sub_f16_e32 v5, v5, v8
	v_add_f16_e32 v8, v80, v82
	v_sub_f16_e32 v7, v81, v7
	v_add_f16_e32 v80, v79, v6
	;; [unrolled: 2-line block ×4, first 2 shown]
	v_sub_f16_e32 v4, v4, v103
	v_sub_f16_e32 v81, v79, v6
	;; [unrolled: 1-line block ×4, first 2 shown]
	v_add_f16_e32 v8, v8, v80
	v_add_f16_e32 v80, v7, v5
	v_sub_f16_e32 v83, v83, v111
	v_sub_f16_e32 v98, v93, v84
	;; [unrolled: 1-line block ×4, first 2 shown]
	v_add_f16_e32 v95, v95, v97
	v_add_f16_e32 v97, v96, v86
	v_sub_f16_e32 v82, v7, v5
	v_sub_f16_e32 v7, v4, v7
	;; [unrolled: 1-line block ×3, first 2 shown]
	v_add_f16_e32 v4, v80, v4
	v_mul_f16_e32 v6, 0x3a52, v6
	v_mul_f16_e32 v80, 0x2b26, v79
	v_sub_f16_e32 v99, v96, v86
	v_sub_f16_e32 v96, v83, v96
	;; [unrolled: 1-line block ×3, first 2 shown]
	v_add_f16_e32 v83, v97, v83
	v_mul_f16_e32 v84, 0x3a52, v84
	v_mul_f16_e32 v97, 0x2b26, v93
	v_fma_f16 v79, v79, s14, v6
	v_fma_f16 v80, v81, s5, -v80
	v_fma_f16 v6, v81, s7, -v6
	v_mul_f16_e32 v81, 0x3846, v82
	v_mul_f16_e32 v82, 0xbb00, v5
	v_fma_f16 v93, v93, s14, v84
	v_fma_f16 v97, v98, s5, -v97
	v_fma_f16 v84, v98, s7, -v84
	v_mul_f16_e32 v98, 0x3846, v99
	v_mul_f16_e32 v99, 0xbb00, v86
	v_add_f16_e32 v9, v9, v95
	v_fma_f16 v5, v5, s6, -v81
	v_fma_f16 v81, v7, s11, v81
	v_fma_f16 v7, v7, s10, -v82
	v_add_f16_e32 v82, v153, v8
	v_fma_f16 v86, v86, s6, -v98
	v_fma_f16 v98, v96, s11, v98
	v_fma_f16 v96, v96, s10, -v99
	v_fma_f16 v95, v95, s4, v9
	v_fma_f16 v8, v8, s4, v82
	v_add_f16_e32 v93, v93, v95
	v_add_f16_e32 v97, v97, v95
	;; [unrolled: 1-line block ×3, first 2 shown]
	v_fma_f16 v95, v83, s0, v98
	v_fma_f16 v86, v83, s0, v86
	;; [unrolled: 1-line block ×3, first 2 shown]
	v_add_f16_e32 v79, v79, v8
	v_add_f16_e32 v80, v80, v8
	;; [unrolled: 1-line block ×3, first 2 shown]
	v_fma_f16 v8, v4, s0, v81
	v_fma_f16 v5, v4, s0, v5
	;; [unrolled: 1-line block ×3, first 2 shown]
	v_add_f16_e32 v96, v86, v97
	v_sub_f16_e32 v86, v97, v86
	v_sub_f16_e32 v97, v84, v83
	v_add_f16_e32 v83, v83, v84
	v_sub_f16_e32 v84, v93, v95
	v_add_f16_e32 v93, v95, v93
	v_add_f16_e32 v7, v5, v80
	v_sub_f16_e32 v5, v80, v5
	v_sub_f16_e32 v80, v6, v4
	v_add_f16_e32 v4, v4, v6
	v_sub_f16_e32 v6, v79, v8
	v_add_f16_e32 v8, v8, v79
	ds_write_b16 v21, v87
	ds_write_b16 v21, v88 offset:98
	ds_write_b16 v21, v92 offset:196
	;; [unrolled: 1-line block ×27, first 2 shown]
	s_waitcnt lgkmcnt(0)
	; wave barrier
	s_waitcnt lgkmcnt(0)
	s_and_saveexec_b64 s[14:15], vcc
	s_cbranch_execz .LBB0_15
; %bb.14:
	v_mul_i32_i24_e32 v4, 6, v22
	v_mov_b32_e32 v5, 0
	v_lshlrev_b64 v[0:1], 2, v[4:5]
	v_mov_b32_e32 v75, s9
	v_add_co_u32_e32 v8, vcc, s8, v0
	v_addc_co_u32_e32 v9, vcc, v75, v1, vcc
	global_load_dwordx4 v[0:3], v[8:9], off offset:1344
	global_load_dwordx2 v[6:7], v[8:9], off offset:1360
	v_mul_i32_i24_e32 v4, -12, v22
	v_add_co_u32_e32 v8, vcc, s8, v10
	v_add_u32_e32 v10, v23, v4
	v_mul_i32_i24_e32 v4, 6, v20
	ds_read_u16 v22, v21 offset:1274
	ds_read_u16 v28, v28
	ds_read_u16 v78, v27
	;; [unrolled: 1-line block ×5, first 2 shown]
	ds_read_u16 v25, v21 offset:4704
	ds_read_u16 v81, v21 offset:4606
	;; [unrolled: 1-line block ×20, first 2 shown]
	v_lshlrev_b64 v[23:24], 2, v[4:5]
	v_addc_co_u32_e32 v9, vcc, 0, v75, vcc
	v_add_co_u32_e32 v23, vcc, s8, v23
	v_addc_co_u32_e32 v24, vcc, v75, v24, vcc
	global_load_dwordx4 v[83:86], v[23:24], off offset:1344
	global_load_dwordx2 v[79:80], v[23:24], off offset:1360
	ds_read_u16 v4, v21 offset:1176
	ds_read_u16 v114, v21 offset:3822
	s_waitcnt vmcnt(3) lgkmcnt(14)
	v_mul_f16_sdwa v20, v0, v22 dst_sel:DWORD dst_unused:UNUSED_PAD src0_sel:WORD_1 src1_sel:DWORD
	s_waitcnt vmcnt(2)
	v_mul_f16_sdwa v23, v7, v25 dst_sel:DWORD dst_unused:UNUSED_PAD src0_sel:WORD_1 src1_sel:DWORD
	s_waitcnt lgkmcnt(12)
	v_mul_f16_sdwa v100, v2, v27 dst_sel:DWORD dst_unused:UNUSED_PAD src0_sel:WORD_1 src1_sel:DWORD
	s_waitcnt lgkmcnt(9)
	;; [unrolled: 2-line block ×3, first 2 shown]
	v_mul_f16_sdwa v107, v6, v99 dst_sel:DWORD dst_unused:UNUSED_PAD src0_sel:WORD_1 src1_sel:DWORD
	v_mul_f16_sdwa v24, v3, v26 dst_sel:DWORD dst_unused:UNUSED_PAD src0_sel:WORD_1 src1_sel:DWORD
	v_mul_f16_sdwa v109, v72, v0 dst_sel:DWORD dst_unused:UNUSED_PAD src0_sel:DWORD src1_sel:WORD_1
	v_mul_f16_sdwa v110, v73, v2 dst_sel:DWORD dst_unused:UNUSED_PAD src0_sel:DWORD src1_sel:WORD_1
	;; [unrolled: 1-line block ×4, first 2 shown]
	v_fma_f16 v20, v72, v0, v20
	v_fma_f16 v23, v77, v7, v23
	v_fma_f16 v72, v73, v2, v100
	v_fma_f16 v71, v71, v1, v101
	v_fma_f16 v73, v76, v6, v107
	v_mul_f16_sdwa v108, v77, v7 dst_sel:DWORD dst_unused:UNUSED_PAD src0_sel:DWORD src1_sel:WORD_1
	v_mul_f16_sdwa v112, v76, v6 dst_sel:DWORD dst_unused:UNUSED_PAD src0_sel:DWORD src1_sel:WORD_1
	v_fma_f16 v24, v74, v3, v24
	v_fma_f16 v2, v2, v27, -v110
	v_fma_f16 v3, v3, v26, -v111
	v_sub_f16_e32 v26, v20, v23
	v_sub_f16_e32 v27, v71, v73
	v_add_f16_e32 v20, v20, v23
	v_add_f16_e32 v71, v71, v73
	v_fma_f16 v7, v7, v25, -v108
	v_fma_f16 v25, v0, v22, -v109
	;; [unrolled: 1-line block ×3, first 2 shown]
	ds_read_u16 v112, v21 offset:1764
	v_fma_f16 v1, v1, v98, -v113
	v_sub_f16_e32 v0, v24, v72
	v_add_f16_e32 v23, v24, v72
	v_add_f16_e32 v109, v20, v71
	;; [unrolled: 1-line block ×5, first 2 shown]
	v_sub_f16_e32 v98, v0, v27
	v_sub_f16_e32 v73, v23, v71
	v_add_f16_e32 v109, v23, v109
	v_sub_f16_e32 v7, v25, v7
	v_sub_f16_e32 v2, v3, v2
	;; [unrolled: 1-line block ×4, first 2 shown]
	v_add_f16_e32 v0, v0, v27
	v_mul_f16_e32 v98, 0x3846, v98
	v_sub_f16_e32 v24, v20, v23
	v_mul_f16_e32 v73, 0x2b26, v73
	v_add_f16_e32 v23, v70, v109
	v_sub_f16_e32 v3, v7, v2
	v_sub_f16_e32 v1, v2, v6
	v_add_f16_e32 v2, v2, v6
	v_add_f16_e32 v101, v26, v0
	v_fma_f16 v0, v77, s11, v98
	v_mul_f16_e32 v72, 0x3a52, v24
	v_fma_f16 v24, v24, s1, v73
	v_fma_f16 v70, v109, s4, v23
	v_add_f16_e32 v25, v7, v2
	v_sub_f16_e32 v7, v6, v7
	v_fma_f16 v108, v101, s0, v0
	ds_read_u16 v0, v10
	v_add_f16_e32 v109, v24, v70
	v_mul_f16_e32 v24, 0x3846, v1
	v_sub_f16_e32 v20, v71, v20
	v_mul_f16_e32 v6, 0xbb00, v7
	v_fma_f16 v1, v3, s11, v24
	v_fma_f16 v71, v20, s7, -v72
	v_fma_f16 v3, v3, s10, -v6
	v_sub_f16_e32 v100, v22, v76
	v_add_f16_e32 v71, v71, v70
	v_fma_f16 v72, v25, s0, v3
	v_fma_f16 v7, v7, s6, -v24
	v_mul_f16_e32 v10, 0x2b26, v100
	v_add_f16_e32 v100, v74, v76
	v_fma_f16 v110, v25, s0, v1
	v_sub_f16_e32 v26, v27, v26
	v_sub_f16_e32 v3, v71, v72
	v_fma_f16 v24, v25, s0, v7
	v_add_f16_e32 v25, v72, v71
	s_waitcnt vmcnt(0)
	v_mul_f16_sdwa v71, v80, v81 dst_sel:DWORD dst_unused:UNUSED_PAD src0_sel:WORD_1 src1_sel:DWORD
	v_sub_f16_e32 v99, v74, v22
	v_add_f16_e32 v100, v22, v100
	v_mul_f16_e32 v2, 0xbb00, v26
	v_fma_f16 v71, v68, v80, v71
	v_mul_f16_sdwa v68, v68, v80 dst_sel:DWORD dst_unused:UNUSED_PAD src0_sel:DWORD src1_sel:WORD_1
	v_mul_f16_e32 v107, 0x3a52, v99
	s_waitcnt lgkmcnt(0)
	v_add_f16_e32 v22, v0, v100
	v_fma_f16 v2, v77, s10, -v2
	v_sub_f16_e32 v74, v76, v74
	v_fma_f16 v7, v20, s5, -v73
	v_mul_f16_sdwa v77, v84, v103 dst_sel:DWORD dst_unused:UNUSED_PAD src0_sel:WORD_1 src1_sel:DWORD
	v_fma_f16 v80, v80, v81, -v68
	v_mul_f16_sdwa v68, v69, v83 dst_sel:DWORD dst_unused:UNUSED_PAD src0_sel:DWORD src1_sel:WORD_1
	v_fma_f16 v100, v100, s4, v22
	v_fma_f16 v27, v101, s0, v2
	v_fma_f16 v2, v74, s7, -v107
	v_fma_f16 v6, v74, s5, -v10
	v_add_f16_e32 v20, v7, v70
	v_mul_f16_sdwa v70, v83, v4 dst_sel:DWORD dst_unused:UNUSED_PAD src0_sel:WORD_1 src1_sel:DWORD
	v_mul_f16_sdwa v73, v86, v87 dst_sel:DWORD dst_unused:UNUSED_PAD src0_sel:WORD_1 src1_sel:DWORD
	;; [unrolled: 1-line block ×3, first 2 shown]
	v_fma_f16 v113, v64, v84, v77
	v_mul_f16_sdwa v77, v79, v106 dst_sel:DWORD dst_unused:UNUSED_PAD src0_sel:WORD_1 src1_sel:DWORD
	v_fma_f16 v81, v83, v4, -v68
	v_mul_i32_i24_e32 v4, 6, v18
	v_add_f16_e32 v76, v2, v100
	v_fma_f16 v70, v69, v83, v70
	v_fma_f16 v73, v67, v86, v73
	;; [unrolled: 1-line block ×4, first 2 shown]
	v_lshlrev_b64 v[68:69], 2, v[4:5]
	v_add_f16_e32 v2, v27, v76
	v_add_f16_e32 v7, v24, v20
	v_sub_f16_e32 v20, v20, v24
	v_sub_f16_e32 v24, v76, v27
	;; [unrolled: 1-line block ×4, first 2 shown]
	v_fma_f16 v99, v99, s1, v10
	v_add_f16_e32 v10, v6, v100
	v_fma_f16 v6, v26, s6, -v98
	v_sub_f16_e32 v72, v70, v71
	v_sub_f16_e32 v77, v76, v116
	v_add_co_u32_e32 v68, vcc, s8, v68
	v_add_f16_e32 v99, v99, v100
	v_fma_f16 v26, v101, s0, v6
	v_sub_f16_e32 v111, v72, v76
	v_mul_f16_e32 v117, 0x3846, v77
	v_add_f16_e32 v76, v76, v116
	v_addc_co_u32_e32 v69, vcc, v75, v69, vcc
	v_add_f16_e32 v0, v108, v99
	v_sub_f16_e32 v6, v10, v26
	v_add_f16_e32 v10, v26, v10
	v_sub_f16_e32 v26, v99, v108
	v_fma_f16 v77, v111, s11, v117
	v_add_f16_e32 v118, v72, v76
	global_load_dwordx4 v[98:101], v[68:69], off offset:1344
	v_fma_f16 v119, v118, s0, v77
	global_load_dwordx2 v[76:77], v[68:69], off offset:1360
	v_mul_f16_sdwa v4, v66, v85 dst_sel:DWORD dst_unused:UNUSED_PAD src0_sel:DWORD src1_sel:WORD_1
	v_mul_f16_sdwa v18, v67, v86 dst_sel:DWORD dst_unused:UNUSED_PAD src0_sel:DWORD src1_sel:WORD_1
	;; [unrolled: 1-line block ×4, first 2 shown]
	v_fma_f16 v4, v85, v102, -v4
	v_fma_f16 v66, v86, v87, -v18
	;; [unrolled: 1-line block ×4, first 2 shown]
	v_add_f16_e32 v18, v66, v4
	v_add_f16_e32 v69, v64, v65
	;; [unrolled: 1-line block ×3, first 2 shown]
	v_sub_f16_e32 v79, v18, v69
	v_sub_f16_e32 v67, v83, v18
	v_mul_f16_e32 v79, 0x2b26, v79
	v_mul_f16_e32 v68, 0x3a52, v67
	v_fma_f16 v84, v67, s1, v79
	v_add_f16_e32 v67, v83, v69
	v_add_f16_e32 v18, v18, v67
	;; [unrolled: 1-line block ×6, first 2 shown]
	v_sub_f16_e32 v86, v28, v74
	v_sub_f16_e32 v70, v71, v28
	v_mul_f16_e32 v86, 0x2b26, v86
	v_mul_f16_e32 v73, 0x3a52, v70
	v_fma_f16 v87, v70, s1, v86
	v_add_f16_e32 v70, v71, v74
	v_add_f16_e32 v28, v28, v70
	v_sub_f16_e32 v64, v64, v65
	v_sub_f16_e32 v65, v116, v72
	v_add_f16_e32 v70, v63, v28
	v_mul_f16_e32 v63, 0xbb00, v65
	v_fma_f16 v63, v111, s10, -v63
	v_sub_f16_e32 v69, v69, v83
	v_fma_f16 v72, v118, s0, v63
	v_fma_f16 v63, v69, s7, -v68
	v_sub_f16_e32 v68, v74, v71
	v_fma_f16 v102, v28, s4, v70
	v_sub_f16_e32 v80, v81, v80
	v_sub_f16_e32 v4, v66, v4
	v_fma_f16 v71, v68, s7, -v73
	v_sub_f16_e32 v28, v4, v64
	v_add_f16_e32 v73, v71, v102
	v_sub_f16_e32 v71, v64, v80
	v_sub_f16_e32 v66, v80, v4
	v_mul_f16_e32 v81, 0x3846, v28
	v_add_f16_e32 v4, v4, v64
	v_mul_f16_e32 v64, 0xbb00, v71
	ds_read_u16 v107, v21 offset:1078
	v_fma_f16 v85, v18, s4, v67
	v_fma_f16 v28, v66, s11, v81
	v_fma_f16 v64, v66, s10, -v64
	v_fma_f16 v66, v69, s5, -v79
	ds_read_u16 v108, v21 offset:4508
	v_add_f16_e32 v4, v80, v4
	v_add_f16_e32 v69, v66, v85
	v_fma_f16 v66, v71, s6, -v81
	v_sub_f16_e32 v1, v109, v110
	v_add_f16_e32 v27, v110, v109
	ds_read_u16 v109, v21 offset:3136
	v_fma_f16 v103, v4, s0, v28
	v_fma_f16 v74, v4, s0, v64
	v_fma_f16 v65, v65, s6, -v117
	v_fma_f16 v4, v4, s0, v66
	v_fma_f16 v66, v68, s5, -v86
	ds_read_u16 v110, v21 offset:2450
	ds_read_u16 v111, v21 offset:3038
	v_add_f16_e32 v83, v63, v85
	v_fma_f16 v79, v118, s0, v65
	v_add_f16_e32 v71, v66, v102
	v_add_f16_e32 v87, v87, v102
	;; [unrolled: 1-line block ×3, first 2 shown]
	v_sub_f16_e32 v65, v69, v79
	v_add_f16_e32 v66, v4, v71
	v_add_f16_e32 v68, v79, v69
	v_sub_f16_e32 v69, v71, v4
	v_sub_f16_e32 v71, v83, v72
	s_waitcnt vmcnt(1)
	v_mul_f16_sdwa v83, v99, v112 dst_sel:DWORD dst_unused:UNUSED_PAD src0_sel:WORD_1 src1_sel:DWORD
	v_sub_f16_e32 v28, v87, v103
	v_sub_f16_e32 v64, v73, v74
	v_add_f16_e32 v72, v74, v73
	v_add_f16_e32 v74, v103, v87
	ds_read_u16 v113, v21 offset:2352
	ds_read_u16 v117, v21 offset:1666
	;; [unrolled: 1-line block ×3, first 2 shown]
	s_waitcnt lgkmcnt(7)
	v_mul_f16_sdwa v4, v98, v107 dst_sel:DWORD dst_unused:UNUSED_PAD src0_sel:WORD_1 src1_sel:DWORD
	v_fma_f16 v118, v57, v99, v83
	s_waitcnt vmcnt(0)
	v_mul_f16_sdwa v83, v76, v114 dst_sel:DWORD dst_unused:UNUSED_PAD src0_sel:WORD_1 src1_sel:DWORD
	v_fma_f16 v79, v62, v98, v4
	s_waitcnt lgkmcnt(6)
	v_mul_f16_sdwa v4, v77, v108 dst_sel:DWORD dst_unused:UNUSED_PAD src0_sel:WORD_1 src1_sel:DWORD
	v_fma_f16 v120, v58, v76, v83
	v_mul_f16_sdwa v58, v58, v76 dst_sel:DWORD dst_unused:UNUSED_PAD src0_sel:DWORD src1_sel:WORD_1
	v_add_f16_e32 v84, v84, v85
	v_fma_f16 v80, v61, v77, v4
	v_fma_f16 v58, v76, v114, -v58
	ds_read_u16 v114, v21 offset:2940
	s_waitcnt lgkmcnt(6)
	v_mul_f16_sdwa v4, v101, v109 dst_sel:DWORD dst_unused:UNUSED_PAD src0_sel:WORD_1 src1_sel:DWORD
	v_add_f16_e32 v18, v119, v84
	v_sub_f16_e32 v73, v84, v119
	v_fma_f16 v106, v60, v101, v4
	ds_read_u16 v119, v21 offset:3724
	s_waitcnt lgkmcnt(6)
	v_mul_f16_sdwa v4, v100, v110 dst_sel:DWORD dst_unused:UNUSED_PAD src0_sel:WORD_1 src1_sel:DWORD
	v_fma_f16 v115, v59, v100, v4
	v_sub_f16_e32 v81, v79, v80
	v_sub_f16_e32 v4, v106, v115
	;; [unrolled: 1-line block ×5, first 2 shown]
	v_add_f16_e32 v4, v4, v121
	v_add_f16_e32 v123, v81, v4
	v_mul_f16_sdwa v4, v61, v77 dst_sel:DWORD dst_unused:UNUSED_PAD src0_sel:DWORD src1_sel:WORD_1
	v_fma_f16 v108, v77, v108, -v4
	v_mul_f16_sdwa v4, v62, v98 dst_sel:DWORD dst_unused:UNUSED_PAD src0_sel:DWORD src1_sel:WORD_1
	v_fma_f16 v98, v98, v107, -v4
	v_mul_i32_i24_e32 v4, 6, v17
	v_lshlrev_b64 v[61:62], 2, v[4:5]
	v_mul_f16_e32 v122, 0x3846, v83
	v_add_co_u32_e32 v61, vcc, s8, v61
	v_fma_f16 v83, v116, s11, v122
	v_addc_co_u32_e32 v62, vcc, v75, v62, vcc
	v_fma_f16 v124, v123, s0, v83
	global_load_dwordx4 v[83:86], v[61:62], off offset:1344
	global_load_dwordx2 v[102:103], v[61:62], off offset:1360
	v_mul_f16_sdwa v4, v59, v100 dst_sel:DWORD dst_unused:UNUSED_PAD src0_sel:DWORD src1_sel:WORD_1
	v_mul_f16_sdwa v17, v60, v101 dst_sel:DWORD dst_unused:UNUSED_PAD src0_sel:DWORD src1_sel:WORD_1
	;; [unrolled: 1-line block ×3, first 2 shown]
	v_fma_f16 v4, v100, v110, -v4
	v_fma_f16 v59, v101, v109, -v17
	;; [unrolled: 1-line block ×3, first 2 shown]
	v_add_f16_e32 v17, v59, v4
	v_add_f16_e32 v76, v57, v58
	v_add_f16_e32 v107, v98, v108
	v_sub_f16_e32 v61, v17, v76
	v_mul_f16_e32 v99, 0x2b26, v61
	v_add_f16_e32 v61, v107, v76
	v_sub_f16_e32 v60, v107, v17
	v_add_f16_e32 v17, v17, v61
	v_add_f16_e32 v61, v78, v17
	v_mul_f16_e32 v62, 0x3a52, v60
	v_fma_f16 v60, v60, s1, v99
	v_fma_f16 v78, v17, s4, v61
	v_add_f16_e32 v100, v60, v78
	v_add_f16_e32 v60, v79, v80
	;; [unrolled: 1-line block ×5, first 2 shown]
	v_sub_f16_e32 v106, v77, v101
	v_add_f16_e32 v109, v77, v109
	v_sub_f16_e32 v81, v121, v81
	v_sub_f16_e32 v79, v60, v77
	v_mul_f16_e32 v106, 0x2b26, v106
	v_add_f16_e32 v77, v56, v109
	v_sub_f16_e32 v58, v57, v58
	v_mul_f16_e32 v57, 0xbb00, v81
	v_mul_f16_e32 v80, 0x3a52, v79
	v_fma_f16 v79, v79, s1, v106
	v_fma_f16 v109, v109, s4, v77
	v_fma_f16 v57, v116, s10, -v57
	v_sub_f16_e32 v76, v76, v107
	v_sub_f16_e32 v60, v101, v60
	v_add_f16_e32 v110, v79, v109
	v_sub_f16_e32 v79, v98, v108
	v_sub_f16_e32 v4, v59, v4
	v_fma_f16 v112, v123, s0, v57
	v_fma_f16 v57, v76, s7, -v62
	v_fma_f16 v62, v60, s7, -v80
	v_sub_f16_e32 v56, v4, v58
	v_add_f16_e32 v80, v62, v109
	v_sub_f16_e32 v62, v58, v79
	v_sub_f16_e32 v59, v79, v4
	v_mul_f16_e32 v98, 0x3846, v56
	v_add_f16_e32 v4, v4, v58
	v_mul_f16_e32 v58, 0xbb00, v62
	v_fma_f16 v56, v59, s11, v98
	v_fma_f16 v58, v59, s10, -v58
	v_fma_f16 v59, v76, s5, -v99
	v_add_f16_e32 v4, v79, v4
	v_add_f16_e32 v76, v59, v78
	v_fma_f16 v59, v81, s6, -v122
	v_fma_f16 v62, v62, s6, -v98
	;; [unrolled: 1-line block ×3, first 2 shown]
	v_fma_f16 v108, v4, s0, v56
	v_add_f16_e32 v107, v57, v78
	v_fma_f16 v79, v4, s0, v58
	v_fma_f16 v78, v123, s0, v59
	;; [unrolled: 1-line block ×3, first 2 shown]
	v_add_f16_e32 v81, v60, v109
	v_sub_f16_e32 v56, v110, v108
	v_sub_f16_e32 v59, v76, v78
	v_add_f16_e32 v60, v4, v81
	v_add_f16_e32 v62, v78, v76
	v_sub_f16_e32 v76, v81, v4
	v_add_f16_e32 v81, v108, v110
	ds_read_u16 v108, v21 offset:882
	v_add_f16_e32 v17, v124, v100
	v_add_f16_e32 v57, v112, v107
	v_sub_f16_e32 v58, v80, v79
	v_sub_f16_e32 v78, v107, v112
	v_add_f16_e32 v79, v79, v80
	v_sub_f16_e32 v80, v100, v124
	ds_read_u16 v121, v21 offset:1568
	s_waitcnt vmcnt(1) lgkmcnt(4)
	v_mul_f16_sdwa v4, v83, v87 dst_sel:DWORD dst_unused:UNUSED_PAD src0_sel:WORD_1 src1_sel:DWORD
	v_fma_f16 v109, v55, v83, v4
	s_waitcnt vmcnt(0)
	v_mul_f16_sdwa v4, v103, v104 dst_sel:DWORD dst_unused:UNUSED_PAD src0_sel:WORD_1 src1_sel:DWORD
	v_fma_f16 v110, v51, v103, v4
	v_mul_f16_sdwa v4, v86, v111 dst_sel:DWORD dst_unused:UNUSED_PAD src0_sel:WORD_1 src1_sel:DWORD
	v_mul_f16_sdwa v98, v84, v117 dst_sel:DWORD dst_unused:UNUSED_PAD src0_sel:WORD_1 src1_sel:DWORD
	v_fma_f16 v115, v54, v86, v4
	v_mul_f16_sdwa v4, v85, v113 dst_sel:DWORD dst_unused:UNUSED_PAD src0_sel:WORD_1 src1_sel:DWORD
	v_fma_f16 v122, v50, v84, v98
	s_waitcnt lgkmcnt(2)
	v_mul_f16_sdwa v98, v102, v119 dst_sel:DWORD dst_unused:UNUSED_PAD src0_sel:WORD_1 src1_sel:DWORD
	v_fma_f16 v118, v53, v85, v4
	v_fma_f16 v123, v52, v102, v98
	v_sub_f16_e32 v112, v109, v110
	v_sub_f16_e32 v4, v115, v118
	;; [unrolled: 1-line block ×5, first 2 shown]
	v_add_f16_e32 v4, v4, v124
	v_add_f16_e32 v126, v112, v4
	v_mul_f16_sdwa v4, v51, v103 dst_sel:DWORD dst_unused:UNUSED_PAD src0_sel:DWORD src1_sel:WORD_1
	v_mul_f16_e32 v125, 0x3846, v98
	v_fma_f16 v51, v103, v104, -v4
	v_mul_f16_sdwa v4, v55, v83 dst_sel:DWORD dst_unused:UNUSED_PAD src0_sel:DWORD src1_sel:WORD_1
	v_fma_f16 v98, v120, s11, v125
	v_fma_f16 v55, v83, v87, -v4
	v_mul_i32_i24_e32 v4, 6, v16
	v_fma_f16 v127, v126, s0, v98
	v_lshlrev_b64 v[98:99], 2, v[4:5]
	v_mul_f16_sdwa v4, v53, v85 dst_sel:DWORD dst_unused:UNUSED_PAD src0_sel:DWORD src1_sel:WORD_1
	v_add_co_u32_e32 v103, vcc, s8, v98
	v_addc_co_u32_e32 v104, vcc, v75, v99, vcc
	global_load_dwordx4 v[98:101], v[103:104], off offset:1344
	global_load_dwordx2 v[106:107], v[103:104], off offset:1360
	v_mul_f16_sdwa v16, v54, v86 dst_sel:DWORD dst_unused:UNUSED_PAD src0_sel:DWORD src1_sel:WORD_1
	v_mul_f16_sdwa v52, v52, v102 dst_sel:DWORD dst_unused:UNUSED_PAD src0_sel:DWORD src1_sel:WORD_1
	;; [unrolled: 1-line block ×3, first 2 shown]
	v_fma_f16 v4, v85, v113, -v4
	v_fma_f16 v53, v86, v111, -v16
	;; [unrolled: 1-line block ×4, first 2 shown]
	v_add_f16_e32 v16, v53, v4
	v_add_f16_e32 v84, v50, v52
	;; [unrolled: 1-line block ×3, first 2 shown]
	v_sub_f16_e32 v83, v16, v84
	v_sub_f16_e32 v54, v87, v16
	v_mul_f16_e32 v86, 0x2b26, v83
	v_mul_f16_e32 v85, 0x3a52, v54
	v_fma_f16 v83, v54, s1, v86
	v_add_f16_e32 v54, v87, v84
	v_add_f16_e32 v16, v16, v54
	;; [unrolled: 1-line block ×3, first 2 shown]
	v_fma_f16 v82, v16, s4, v54
	v_add_f16_e32 v102, v83, v82
	v_add_f16_e32 v103, v109, v110
	;; [unrolled: 1-line block ×4, first 2 shown]
	v_sub_f16_e32 v104, v103, v83
	v_add_f16_e32 v113, v103, v110
	v_mul_f16_e32 v109, 0x3a52, v104
	v_add_f16_e32 v113, v83, v113
	v_sub_f16_e32 v51, v55, v51
	v_sub_f16_e32 v4, v53, v4
	;; [unrolled: 1-line block ×7, first 2 shown]
	v_add_f16_e32 v83, v49, v113
	v_sub_f16_e32 v53, v51, v4
	v_sub_f16_e32 v49, v4, v52
	v_add_f16_e32 v4, v4, v52
	v_mul_f16_e32 v50, 0xbb00, v112
	v_fma_f16 v103, v87, s7, -v109
	v_sub_f16_e32 v109, v52, v51
	v_mul_f16_e32 v55, 0x3846, v49
	v_add_f16_e32 v4, v51, v4
	v_fma_f16 v50, v120, s10, -v50
	v_mul_f16_e32 v51, 0xbb00, v109
	v_mul_f16_e32 v111, 0x2b26, v111
	v_fma_f16 v49, v53, s11, v55
	v_fma_f16 v117, v126, s0, v50
	v_fma_f16 v50, v84, s7, -v85
	v_fma_f16 v51, v53, s10, -v51
	;; [unrolled: 1-line block ×4, first 2 shown]
	ds_read_u16 v116, v21 offset:2254
	v_fma_f16 v113, v113, s4, v83
	v_fma_f16 v115, v4, s0, v49
	v_add_f16_e32 v85, v50, v82
	v_fma_f16 v110, v4, s0, v51
	v_add_f16_e32 v82, v52, v82
	v_fma_f16 v52, v112, s6, -v125
	v_fma_f16 v4, v4, s0, v53
	v_fma_f16 v53, v87, s5, -v111
	v_fma_f16 v84, v126, s0, v52
	v_add_f16_e32 v86, v53, v113
	v_fma_f16 v104, v104, s1, v111
	v_add_f16_e32 v103, v103, v113
	v_sub_f16_e32 v52, v82, v84
	v_add_f16_e32 v53, v4, v86
	v_add_f16_e32 v55, v84, v82
	v_sub_f16_e32 v82, v86, v4
	ds_read_u16 v109, v21 offset:784
	v_add_f16_e32 v104, v104, v113
	v_add_f16_e32 v50, v117, v85
	v_sub_f16_e32 v51, v103, v110
	v_sub_f16_e32 v84, v85, v117
	v_add_f16_e32 v85, v110, v103
	v_add_f16_e32 v16, v127, v102
	v_sub_f16_e32 v49, v104, v115
	v_sub_f16_e32 v86, v102, v127
	s_waitcnt vmcnt(1) lgkmcnt(3)
	v_mul_f16_sdwa v4, v98, v108 dst_sel:DWORD dst_unused:UNUSED_PAD src0_sel:WORD_1 src1_sel:DWORD
	v_fma_f16 v110, v48, v98, v4
	s_waitcnt vmcnt(0)
	v_mul_f16_sdwa v4, v107, v105 dst_sel:DWORD dst_unused:UNUSED_PAD src0_sel:WORD_1 src1_sel:DWORD
	v_add_f16_e32 v87, v115, v104
	v_fma_f16 v111, v44, v107, v4
	v_mul_f16_sdwa v4, v101, v114 dst_sel:DWORD dst_unused:UNUSED_PAD src0_sel:WORD_1 src1_sel:DWORD
	ds_read_u16 v115, v21 offset:2156
	ds_read_u16 v119, v21 offset:1470
	s_waitcnt lgkmcnt(4)
	v_mul_f16_sdwa v102, v99, v121 dst_sel:DWORD dst_unused:UNUSED_PAD src0_sel:WORD_1 src1_sel:DWORD
	v_fma_f16 v113, v47, v101, v4
	s_waitcnt lgkmcnt(3)
	v_mul_f16_sdwa v4, v100, v116 dst_sel:DWORD dst_unused:UNUSED_PAD src0_sel:WORD_1 src1_sel:DWORD
	v_fma_f16 v120, v43, v99, v102
	v_mul_f16_sdwa v102, v106, v96 dst_sel:DWORD dst_unused:UNUSED_PAD src0_sel:WORD_1 src1_sel:DWORD
	v_fma_f16 v117, v46, v100, v4
	v_fma_f16 v122, v42, v106, v102
	v_sub_f16_e32 v112, v110, v111
	v_sub_f16_e32 v4, v113, v117
	;; [unrolled: 1-line block ×5, first 2 shown]
	v_add_f16_e32 v4, v4, v123
	v_add_f16_e32 v125, v112, v4
	v_mul_f16_sdwa v4, v44, v107 dst_sel:DWORD dst_unused:UNUSED_PAD src0_sel:DWORD src1_sel:WORD_1
	v_fma_f16 v44, v107, v105, -v4
	v_mul_f16_sdwa v4, v48, v98 dst_sel:DWORD dst_unused:UNUSED_PAD src0_sel:DWORD src1_sel:WORD_1
	v_fma_f16 v48, v98, v108, -v4
	v_mul_i32_i24_e32 v4, 6, v19
	v_lshlrev_b64 v[4:5], 2, v[4:5]
	v_mul_f16_e32 v124, 0x3846, v102
	v_add_co_u32_e32 v4, vcc, s8, v4
	v_fma_f16 v102, v118, s11, v124
	v_addc_co_u32_e32 v5, vcc, v75, v5, vcc
	v_fma_f16 v126, v125, s0, v102
	global_load_dwordx4 v[102:105], v[4:5], off offset:1344
	v_mul_f16_sdwa v19, v46, v100 dst_sel:DWORD dst_unused:UNUSED_PAD src0_sel:DWORD src1_sel:WORD_1
	global_load_dwordx2 v[4:5], v[4:5], off offset:1360
	v_fma_f16 v46, v100, v116, -v19
	v_mul_f16_sdwa v19, v47, v101 dst_sel:DWORD dst_unused:UNUSED_PAD src0_sel:DWORD src1_sel:WORD_1
	v_mul_f16_sdwa v42, v42, v106 dst_sel:DWORD dst_unused:UNUSED_PAD src0_sel:DWORD src1_sel:WORD_1
	;; [unrolled: 1-line block ×3, first 2 shown]
	v_fma_f16 v47, v101, v114, -v19
	v_fma_f16 v42, v106, v96, -v42
	;; [unrolled: 1-line block ×3, first 2 shown]
	v_add_f16_e32 v19, v47, v46
	v_add_f16_e32 v96, v43, v42
	v_add_f16_e32 v98, v48, v44
	v_sub_f16_e32 v99, v19, v96
	v_sub_f16_e32 v75, v98, v19
	v_mul_f16_e32 v99, 0x2b26, v99
	v_mul_f16_e32 v100, 0x3a52, v75
	v_fma_f16 v101, v75, s1, v99
	v_add_f16_e32 v75, v98, v96
	v_add_f16_e32 v19, v19, v75
	;; [unrolled: 1-line block ×8, first 2 shown]
	v_sub_f16_e32 v108, v107, v92
	v_sub_f16_e32 v113, v92, v111
	v_add_f16_e32 v92, v45, v114
	v_sub_f16_e32 v44, v48, v44
	v_sub_f16_e32 v45, v47, v46
	;; [unrolled: 1-line block ×5, first 2 shown]
	v_add_f16_e32 v43, v45, v47
	v_sub_f16_e32 v45, v123, v112
	v_add_f16_e32 v116, v44, v43
	v_mul_f16_e32 v43, 0xbb00, v45
	v_sub_f16_e32 v47, v47, v44
	v_mul_f16_e32 v48, 0x3846, v42
	v_fma_f16 v43, v118, s10, -v43
	v_sub_f16_e32 v96, v96, v98
	v_mul_f16_e32 v44, 0xbb00, v47
	v_fma_f16 v106, v19, s4, v75
	v_mul_f16_e32 v110, 0x3a52, v108
	v_fma_f16 v42, v46, s11, v48
	v_fma_f16 v112, v125, s0, v43
	v_fma_f16 v43, v96, s7, -v100
	v_sub_f16_e32 v100, v111, v107
	v_fma_f16 v44, v46, s10, -v44
	v_fma_f16 v46, v96, s5, -v99
	;; [unrolled: 1-line block ×3, first 2 shown]
	v_add_f16_e32 v101, v101, v106
	v_mul_f16_e32 v113, 0x2b26, v113
	v_fma_f16 v114, v114, s4, v92
	v_fma_f16 v107, v100, s7, -v110
	v_add_f16_e32 v96, v46, v106
	v_fma_f16 v99, v125, s0, v45
	v_fma_f16 v46, v47, s6, -v48
	v_add_f16_e32 v19, v126, v101
	v_fma_f16 v108, v108, s1, v113
	v_add_f16_e32 v98, v43, v106
	v_add_f16_e32 v107, v107, v114
	v_fma_f16 v110, v116, s0, v44
	v_sub_f16_e32 v45, v96, v99
	v_fma_f16 v48, v116, s0, v46
	v_fma_f16 v46, v100, s5, -v113
	v_add_f16_e32 v47, v99, v96
	v_sub_f16_e32 v99, v101, v126
	ds_read_u16 v101, v21 offset:686
	v_add_f16_e32 v108, v108, v114
	v_fma_f16 v117, v116, s0, v42
	v_add_f16_e32 v43, v112, v98
	v_sub_f16_e32 v44, v107, v110
	v_add_f16_e32 v100, v46, v114
	v_sub_f16_e32 v96, v98, v112
	;; [unrolled: 2-line block ×4, first 2 shown]
	s_waitcnt vmcnt(1) lgkmcnt(3)
	v_mul_f16_sdwa v106, v102, v109 dst_sel:DWORD dst_unused:UNUSED_PAD src0_sel:WORD_1 src1_sel:DWORD
	v_fma_f16 v110, v39, v102, v106
	s_waitcnt vmcnt(0)
	v_mul_f16_sdwa v106, v5, v97 dst_sel:DWORD dst_unused:UNUSED_PAD src0_sel:WORD_1 src1_sel:DWORD
	v_add_f16_e32 v100, v117, v108
	v_fma_f16 v111, v41, v5, v106
	v_mul_f16_sdwa v106, v105, v95 dst_sel:DWORD dst_unused:UNUSED_PAD src0_sel:WORD_1 src1_sel:DWORD
	ds_read_u16 v117, v21 offset:1372
	s_waitcnt lgkmcnt(2)
	v_mul_f16_sdwa v107, v103, v119 dst_sel:DWORD dst_unused:UNUSED_PAD src0_sel:WORD_1 src1_sel:DWORD
	v_fma_f16 v113, v40, v105, v106
	v_mul_f16_sdwa v106, v104, v115 dst_sel:DWORD dst_unused:UNUSED_PAD src0_sel:WORD_1 src1_sel:DWORD
	v_fma_f16 v118, v35, v103, v107
	;; [unrolled: 2-line block ×3, first 2 shown]
	v_fma_f16 v120, v38, v4, v107
	v_sub_f16_e32 v106, v113, v114
	v_sub_f16_e32 v121, v118, v120
	;; [unrolled: 1-line block ×5, first 2 shown]
	v_mul_f16_e32 v122, 0x3846, v107
	v_add_f16_e32 v106, v106, v121
	v_fma_f16 v107, v116, s11, v122
	v_add_f16_e32 v123, v112, v106
	v_mul_f16_sdwa v39, v39, v102 dst_sel:DWORD dst_unused:UNUSED_PAD src0_sel:DWORD src1_sel:WORD_1
	v_fma_f16 v124, v123, s0, v107
	v_fma_f16 v39, v102, v109, -v39
	global_load_dwordx4 v[106:109], v[8:9], off offset:1344
	v_mul_f16_sdwa v41, v41, v5 dst_sel:DWORD dst_unused:UNUSED_PAD src0_sel:DWORD src1_sel:WORD_1
	global_load_dwordx2 v[8:9], v[8:9], off offset:1360
	v_mul_f16_sdwa v38, v38, v4 dst_sel:DWORD dst_unused:UNUSED_PAD src0_sel:DWORD src1_sel:WORD_1
	v_mul_f16_sdwa v35, v35, v103 dst_sel:DWORD dst_unused:UNUSED_PAD src0_sel:DWORD src1_sel:WORD_1
	v_fma_f16 v5, v5, v97, -v41
	v_mul_f16_sdwa v36, v36, v104 dst_sel:DWORD dst_unused:UNUSED_PAD src0_sel:DWORD src1_sel:WORD_1
	v_mul_f16_sdwa v40, v40, v105 dst_sel:DWORD dst_unused:UNUSED_PAD src0_sel:DWORD src1_sel:WORD_1
	v_fma_f16 v4, v4, v94, -v38
	v_fma_f16 v35, v103, v119, -v35
	v_add_f16_e32 v41, v39, v5
	v_fma_f16 v36, v104, v115, -v36
	v_fma_f16 v40, v105, v95, -v40
	v_add_f16_e32 v38, v35, v4
	v_add_f16_e32 v104, v110, v111
	;; [unrolled: 1-line block ×7, first 2 shown]
	v_sub_f16_e32 v5, v39, v5
	v_sub_f16_e32 v36, v40, v36
	;; [unrolled: 1-line block ×5, first 2 shown]
	v_add_f16_e32 v95, v95, v103
	v_sub_f16_e32 v110, v104, v105
	v_sub_f16_e32 v114, v105, v113
	v_add_f16_e32 v105, v105, v115
	v_sub_f16_e32 v39, v5, v36
	v_sub_f16_e32 v35, v36, v4
	v_add_f16_e32 v36, v36, v4
	v_sub_f16_e32 v4, v4, v5
	v_mul_f16_e32 v102, 0x3a52, v97
	v_mul_f16_e32 v94, 0x2b26, v94
	v_add_f16_e32 v93, v93, v95
	v_mul_f16_e32 v111, 0x3a52, v110
	v_mul_f16_e32 v114, 0x2b26, v114
	v_add_f16_e32 v37, v37, v105
	v_mul_f16_e32 v35, 0x3846, v35
	v_add_f16_e32 v36, v5, v36
	v_sub_f16_e32 v112, v121, v112
	v_sub_f16_e32 v38, v38, v41
	;; [unrolled: 1-line block ×3, first 2 shown]
	v_mul_f16_e32 v5, 0xbb00, v4
	v_fma_f16 v97, v97, s1, v94
	v_fma_f16 v95, v95, s4, v93
	;; [unrolled: 1-line block ×5, first 2 shown]
	v_fma_f16 v41, v38, s7, -v102
	v_fma_f16 v111, v104, s7, -v111
	;; [unrolled: 1-line block ×7, first 2 shown]
	v_add_f16_e32 v110, v110, v105
	v_fma_f16 v40, v36, s0, v40
	v_add_f16_e32 v111, v111, v105
	v_fma_f16 v5, v36, s0, v5
	;; [unrolled: 2-line block ×3, first 2 shown]
	v_fma_f16 v4, v36, s0, v4
	v_add_f16_e32 v35, v35, v105
	v_add_f16_e32 v97, v97, v95
	v_sub_f16_e32 v115, v110, v40
	v_add_f16_e32 v41, v41, v95
	v_sub_f16_e32 v39, v111, v5
	v_sub_f16_e32 v95, v38, v94
	v_add_f16_e32 v36, v4, v35
	v_add_f16_e32 v38, v94, v38
	v_sub_f16_e32 v35, v35, v4
	ds_read_u16 v4, v21
	v_add_f16_e32 v94, v5, v111
	v_add_f16_e32 v40, v40, v110
	v_mul_f16_e32 v118, 0xbb00, v112
	v_fma_f16 v116, v116, s10, -v118
	v_fma_f16 v116, v123, s0, v116
	v_add_f16_e32 v102, v116, v41
	s_waitcnt vmcnt(1) lgkmcnt(2)
	v_mul_f16_sdwa v5, v106, v101 dst_sel:DWORD dst_unused:UNUSED_PAD src0_sel:WORD_1 src1_sel:DWORD
	v_mul_f16_sdwa v105, v109, v89 dst_sel:DWORD dst_unused:UNUSED_PAD src0_sel:WORD_1 src1_sel:DWORD
	s_waitcnt vmcnt(0)
	v_mul_f16_sdwa v21, v9, v91 dst_sel:DWORD dst_unused:UNUSED_PAD src0_sel:WORD_1 src1_sel:DWORD
	v_mul_f16_sdwa v110, v108, v90 dst_sel:DWORD dst_unused:UNUSED_PAD src0_sel:WORD_1 src1_sel:DWORD
	s_waitcnt lgkmcnt(1)
	v_mul_f16_sdwa v113, v107, v117 dst_sel:DWORD dst_unused:UNUSED_PAD src0_sel:WORD_1 src1_sel:DWORD
	v_mul_f16_sdwa v114, v8, v88 dst_sel:DWORD dst_unused:UNUSED_PAD src0_sel:WORD_1 src1_sel:DWORD
	v_fma_f16 v5, v30, v106, v5
	v_fma_f16 v21, v34, v9, v21
	;; [unrolled: 1-line block ×6, first 2 shown]
	v_mul_f16_sdwa v34, v34, v9 dst_sel:DWORD dst_unused:UNUSED_PAD src0_sel:DWORD src1_sel:WORD_1
	v_mul_f16_sdwa v30, v30, v106 dst_sel:DWORD dst_unused:UNUSED_PAD src0_sel:DWORD src1_sel:WORD_1
	;; [unrolled: 1-line block ×6, first 2 shown]
	v_fma_f16 v9, v9, v91, -v34
	v_fma_f16 v30, v106, v101, -v30
	;; [unrolled: 1-line block ×6, first 2 shown]
	v_add_f16_e32 v34, v30, v9
	v_add_f16_e32 v31, v29, v8
	v_sub_f16_e32 v9, v30, v9
	v_sub_f16_e32 v30, v33, v32
	v_sub_f16_e32 v8, v29, v8
	v_sub_f16_e32 v41, v41, v116
	v_sub_f16_e32 v104, v5, v21
	v_sub_f16_e32 v111, v105, v110
	v_sub_f16_e32 v116, v113, v114
	v_add_f16_e32 v89, v33, v32
	v_add_f16_e32 v101, v34, v31
	v_sub_f16_e32 v32, v9, v30
	v_sub_f16_e32 v29, v30, v8
	v_add_f16_e32 v30, v30, v8
	v_sub_f16_e32 v8, v8, v9
	v_sub_f16_e32 v112, v104, v111
	;; [unrolled: 1-line block ×3, first 2 shown]
	v_add_f16_e32 v111, v111, v116
	v_sub_f16_e32 v90, v34, v89
	v_sub_f16_e32 v88, v89, v31
	v_add_f16_e32 v89, v89, v101
	v_add_f16_e32 v30, v9, v30
	v_mul_f16_e32 v9, 0xbb00, v8
	v_add_f16_e32 v111, v104, v111
	v_mul_f16_e32 v91, 0x3a52, v90
	v_mul_f16_e32 v88, 0x2b26, v88
	s_waitcnt lgkmcnt(0)
	v_add_f16_e32 v101, v4, v89
	v_add_f16_e32 v5, v5, v21
	v_add_f16_e32 v21, v105, v110
	v_add_f16_e32 v107, v113, v114
	v_mul_f16_e32 v29, 0x3846, v29
	v_sub_f16_e32 v104, v116, v104
	v_sub_f16_e32 v31, v31, v34
	v_fma_f16 v9, v32, s10, -v9
	v_mul_f16_e32 v118, 0x3846, v118
	v_fma_f16 v90, v90, s1, v88
	v_fma_f16 v4, v89, s4, v101
	v_sub_f16_e32 v108, v21, v107
	v_fma_f16 v33, v32, s11, v29
	v_mul_f16_e32 v110, 0xbb00, v104
	v_fma_f16 v34, v31, s7, -v91
	v_fma_f16 v32, v30, s0, v9
	v_fma_f16 v9, v31, s5, -v88
	v_fma_f16 v119, v112, s11, v118
	v_add_f16_e32 v89, v90, v4
	v_sub_f16_e32 v105, v5, v21
	v_mul_f16_e32 v108, 0x2b26, v108
	v_add_f16_e32 v109, v5, v107
	v_fma_f16 v110, v112, s10, -v110
	v_add_f16_e32 v34, v34, v4
	v_add_f16_e32 v4, v9, v4
	v_fma_f16 v9, v104, s6, -v118
	v_fma_f16 v8, v8, s6, -v29
	v_fma_f16 v119, v111, s0, v119
	v_mul_f16_e32 v106, 0x3a52, v105
	v_fma_f16 v105, v105, s1, v108
	v_add_f16_e32 v21, v21, v109
	v_fma_f16 v33, v30, s0, v33
	v_fma_f16 v110, v111, s0, v110
	;; [unrolled: 1-line block ×4, first 2 shown]
	v_mad_u64_u32 v[8:9], s[0:1], s2, v14, 0
	v_add_f16_e32 v109, v11, v21
	v_fma_f16 v11, v21, s4, v109
	v_sub_f16_e32 v5, v107, v5
	v_add_f16_e32 v21, v105, v11
	v_fma_f16 v106, v5, s7, -v106
	v_fma_f16 v5, v5, s5, -v108
	v_sub_f16_e32 v105, v21, v33
	v_sub_f16_e32 v88, v4, v31
	v_add_f16_e32 v5, v5, v11
	v_add_f16_e32 v31, v31, v4
	v_mov_b32_e32 v4, v9
	v_add_f16_e32 v21, v33, v21
	v_add_u32_e32 v33, 0x157, v14
	v_add_f16_e32 v104, v29, v5
	v_sub_f16_e32 v108, v5, v29
	v_mad_u64_u32 v[4:5], s[0:1], s3, v14, v[4:5]
	v_mad_u64_u32 v[29:30], s[0:1], s2, v33, 0
	v_add_f16_e32 v106, v106, v11
	v_mov_b32_e32 v9, v4
	v_mov_b32_e32 v11, v30
	;; [unrolled: 1-line block ×3, first 2 shown]
	v_add_co_u32_e32 v4, vcc, s12, v12
	v_lshlrev_b64 v[8:9], 2, v[8:9]
	v_mad_u64_u32 v[11:12], s[0:1], s3, v33, v[11:12]
	v_addc_co_u32_e32 v5, vcc, v5, v13, vcc
	v_add_co_u32_e32 v8, vcc, v4, v8
	v_addc_co_u32_e32 v9, vcc, v5, v9, vcc
	v_pack_b32_f16 v12, v109, v101
	v_add_u32_e32 v13, 0x2ae, v14
	global_store_dword v[8:9], v12, off
	v_mov_b32_e32 v30, v11
	v_mad_u64_u32 v[11:12], s[0:1], s2, v13, 0
	v_lshlrev_b64 v[8:9], 2, v[29:30]
	v_add_f16_e32 v90, v119, v89
	v_mad_u64_u32 v[12:13], s[0:1], s3, v13, v[12:13]
	v_add_u32_e32 v13, 0x405, v14
	v_mad_u64_u32 v[29:30], s[0:1], s2, v13, 0
	v_sub_f16_e32 v89, v89, v119
	v_add_co_u32_e32 v8, vcc, v4, v8
	v_addc_co_u32_e32 v9, vcc, v5, v9, vcc
	v_pack_b32_f16 v21, v21, v89
	global_store_dword v[8:9], v21, off
	v_lshlrev_b64 v[8:9], 2, v[11:12]
	v_mov_b32_e32 v11, v30
	v_mad_u64_u32 v[11:12], s[0:1], s3, v13, v[11:12]
	v_add_f16_e32 v91, v110, v34
	v_sub_f16_e32 v107, v106, v32
	v_sub_f16_e32 v34, v34, v110
	v_add_f16_e32 v32, v32, v106
	v_add_co_u32_e32 v8, vcc, v4, v8
	v_addc_co_u32_e32 v9, vcc, v5, v9, vcc
	v_pack_b32_f16 v12, v32, v34
	v_add_u32_e32 v13, 0x55c, v14
	global_store_dword v[8:9], v12, off
	v_mov_b32_e32 v30, v11
	v_mad_u64_u32 v[11:12], s[0:1], s2, v13, 0
	v_lshlrev_b64 v[8:9], 2, v[29:30]
	v_pack_b32_f16 v21, v108, v31
	v_mad_u64_u32 v[12:13], s[0:1], s3, v13, v[12:13]
	v_add_u32_e32 v13, 0x6b3, v14
	v_mad_u64_u32 v[29:30], s[0:1], s2, v13, 0
	v_add_co_u32_e32 v8, vcc, v4, v8
	v_addc_co_u32_e32 v9, vcc, v5, v9, vcc
	global_store_dword v[8:9], v21, off
	v_lshlrev_b64 v[8:9], 2, v[11:12]
	v_mov_b32_e32 v11, v30
	v_mad_u64_u32 v[11:12], s[0:1], s3, v13, v[11:12]
	v_add_co_u32_e32 v8, vcc, v4, v8
	v_addc_co_u32_e32 v9, vcc, v5, v9, vcc
	v_pack_b32_f16 v12, v104, v88
	v_add_u32_e32 v13, 0x80a, v14
	global_store_dword v[8:9], v12, off
	v_mov_b32_e32 v30, v11
	v_mad_u64_u32 v[11:12], s[0:1], s2, v13, 0
	v_lshlrev_b64 v[8:9], 2, v[29:30]
	v_pack_b32_f16 v21, v105, v90
	v_mad_u64_u32 v[12:13], s[0:1], s3, v13, v[12:13]
	v_add_co_u32_e32 v8, vcc, v4, v8
	v_addc_co_u32_e32 v9, vcc, v5, v9, vcc
	v_pack_b32_f16 v13, v107, v91
	global_store_dword v[8:9], v13, off
	v_lshlrev_b64 v[8:9], 2, v[11:12]
	v_mad_u64_u32 v[11:12], s[4:5], s2, v15, 0
	v_add_co_u32_e32 v8, vcc, v4, v8
	v_mad_u64_u32 v[12:13], s[4:5], s3, v15, v[12:13]
	v_add_u32_e32 v13, 0x188, v14
	v_mad_u64_u32 v[29:30], s[4:5], s2, v13, 0
	v_addc_co_u32_e32 v9, vcc, v5, v9, vcc
	global_store_dword v[8:9], v21, off
	v_lshlrev_b64 v[8:9], 2, v[11:12]
	v_mov_b32_e32 v11, v30
	v_mad_u64_u32 v[11:12], s[4:5], s3, v13, v[11:12]
	v_add_co_u32_e32 v8, vcc, v4, v8
	v_addc_co_u32_e32 v9, vcc, v5, v9, vcc
	v_pack_b32_f16 v12, v37, v93
	v_add_u32_e32 v13, 0x2df, v14
	global_store_dword v[8:9], v12, off
	v_mov_b32_e32 v30, v11
	v_mad_u64_u32 v[11:12], s[4:5], s2, v13, 0
	v_lshlrev_b64 v[8:9], 2, v[29:30]
	v_add_f16_e32 v103, v124, v97
	v_mad_u64_u32 v[12:13], s[4:5], s3, v13, v[12:13]
	v_add_u32_e32 v13, 0x436, v14
	v_mad_u64_u32 v[29:30], s[4:5], s2, v13, 0
	v_sub_f16_e32 v97, v97, v124
	v_add_co_u32_e32 v8, vcc, v4, v8
	v_addc_co_u32_e32 v9, vcc, v5, v9, vcc
	v_pack_b32_f16 v15, v40, v97
	global_store_dword v[8:9], v15, off
	v_lshlrev_b64 v[8:9], 2, v[11:12]
	v_mov_b32_e32 v11, v30
	v_mad_u64_u32 v[11:12], s[4:5], s3, v13, v[11:12]
	v_add_co_u32_e32 v8, vcc, v4, v8
	v_addc_co_u32_e32 v9, vcc, v5, v9, vcc
	v_pack_b32_f16 v12, v94, v41
	v_add_u32_e32 v13, 0x58d, v14
	global_store_dword v[8:9], v12, off
	v_mov_b32_e32 v30, v11
	v_mad_u64_u32 v[11:12], s[4:5], s2, v13, 0
	v_lshlrev_b64 v[8:9], 2, v[29:30]
	v_pack_b32_f16 v15, v35, v38
	v_mad_u64_u32 v[12:13], s[4:5], s3, v13, v[12:13]
	v_add_u32_e32 v13, 0x6e4, v14
	v_mad_u64_u32 v[29:30], s[4:5], s2, v13, 0
	v_add_co_u32_e32 v8, vcc, v4, v8
	v_addc_co_u32_e32 v9, vcc, v5, v9, vcc
	global_store_dword v[8:9], v15, off
	v_lshlrev_b64 v[8:9], 2, v[11:12]
	v_mov_b32_e32 v11, v30
	v_mad_u64_u32 v[11:12], s[4:5], s3, v13, v[11:12]
	v_add_co_u32_e32 v8, vcc, v4, v8
	v_addc_co_u32_e32 v9, vcc, v5, v9, vcc
	v_pack_b32_f16 v12, v36, v95
	v_add_u32_e32 v13, 0x83b, v14
	global_store_dword v[8:9], v12, off
	v_mov_b32_e32 v30, v11
	v_mad_u64_u32 v[11:12], s[4:5], s2, v13, 0
	v_lshlrev_b64 v[8:9], 2, v[29:30]
	v_pack_b32_f16 v15, v39, v102
	v_mad_u64_u32 v[12:13], s[4:5], s3, v13, v[12:13]
	v_add_u32_e32 v13, 0x62, v14
	v_mad_u64_u32 v[29:30], s[4:5], s2, v13, 0
	v_add_co_u32_e32 v8, vcc, v4, v8
	v_addc_co_u32_e32 v9, vcc, v5, v9, vcc
	;; [unrolled: 18-line block ×8, first 2 shown]
	global_store_dword v[8:9], v15, off
	v_lshlrev_b64 v[8:9], 2, v[11:12]
	v_mov_b32_e32 v11, v30
	v_mad_u64_u32 v[11:12], s[4:5], s3, v13, v[11:12]
	v_add_co_u32_e32 v8, vcc, v4, v8
	v_addc_co_u32_e32 v9, vcc, v5, v9, vcc
	v_pack_b32_f16 v12, v53, v52
	v_add_u32_e32 v13, 0x89d, v14
	global_store_dword v[8:9], v12, off
	v_mov_b32_e32 v30, v11
	v_mad_u64_u32 v[11:12], s[4:5], s2, v13, 0
	s_mov_b32 s1, 0xbf112a8b
	v_lshlrev_b64 v[8:9], 2, v[29:30]
	v_mad_u64_u32 v[12:13], s[4:5], s3, v13, v[12:13]
	v_add_u32_e32 v13, 0xc4, v14
	v_mul_hi_u32 v19, v13, s1
	v_add_co_u32_e32 v8, vcc, v4, v8
	v_addc_co_u32_e32 v9, vcc, v5, v9, vcc
	v_pack_b32_f16 v15, v51, v50
	s_movk_i32 s0, 0x80a
	global_store_dword v[8:9], v15, off
	v_lshlrev_b64 v[8:9], 2, v[11:12]
	v_lshrrev_b32_e32 v11, 8, v19
	v_mad_u32_u24 v19, v11, s0, v13
	v_mad_u64_u32 v[11:12], s[4:5], s2, v19, 0
	v_pack_b32_f16 v21, v49, v16
	v_add_co_u32_e32 v8, vcc, v4, v8
	v_mad_u64_u32 v[12:13], s[4:5], s3, v19, v[12:13]
	v_add_u32_e32 v13, 0x157, v19
	v_mad_u64_u32 v[15:16], s[4:5], s2, v13, 0
	v_addc_co_u32_e32 v9, vcc, v5, v9, vcc
	global_store_dword v[8:9], v21, off
	v_lshlrev_b64 v[8:9], 2, v[11:12]
	v_mov_b32_e32 v11, v16
	v_mad_u64_u32 v[11:12], s[4:5], s3, v13, v[11:12]
	v_add_co_u32_e32 v8, vcc, v4, v8
	v_addc_co_u32_e32 v9, vcc, v5, v9, vcc
	v_pack_b32_f16 v12, v77, v61
	v_add_u32_e32 v13, 0x2ae, v19
	global_store_dword v[8:9], v12, off
	v_mov_b32_e32 v16, v11
	v_mad_u64_u32 v[11:12], s[4:5], s2, v13, 0
	v_lshlrev_b64 v[8:9], 2, v[15:16]
	v_pack_b32_f16 v21, v81, v80
	v_mad_u64_u32 v[12:13], s[4:5], s3, v13, v[12:13]
	v_add_u32_e32 v13, 0x405, v19
	v_mad_u64_u32 v[15:16], s[4:5], s2, v13, 0
	v_add_co_u32_e32 v8, vcc, v4, v8
	v_addc_co_u32_e32 v9, vcc, v5, v9, vcc
	global_store_dword v[8:9], v21, off
	v_lshlrev_b64 v[8:9], 2, v[11:12]
	v_mov_b32_e32 v11, v16
	v_mad_u64_u32 v[11:12], s[4:5], s3, v13, v[11:12]
	v_add_co_u32_e32 v8, vcc, v4, v8
	v_addc_co_u32_e32 v9, vcc, v5, v9, vcc
	v_pack_b32_f16 v12, v79, v78
	v_add_u32_e32 v13, 0x55c, v19
	global_store_dword v[8:9], v12, off
	v_mov_b32_e32 v16, v11
	v_mad_u64_u32 v[11:12], s[4:5], s2, v13, 0
	v_lshlrev_b64 v[8:9], 2, v[15:16]
	v_pack_b32_f16 v21, v76, v62
	v_mad_u64_u32 v[12:13], s[4:5], s3, v13, v[12:13]
	v_add_u32_e32 v13, 0x6b3, v19
	v_mad_u64_u32 v[15:16], s[4:5], s2, v13, 0
	v_add_co_u32_e32 v8, vcc, v4, v8
	v_addc_co_u32_e32 v9, vcc, v5, v9, vcc
	global_store_dword v[8:9], v21, off
	v_lshlrev_b64 v[8:9], 2, v[11:12]
	v_mov_b32_e32 v11, v16
	v_mad_u64_u32 v[11:12], s[4:5], s3, v13, v[11:12]
	v_add_co_u32_e32 v8, vcc, v4, v8
	v_addc_co_u32_e32 v9, vcc, v5, v9, vcc
	v_pack_b32_f16 v12, v60, v59
	v_add_u32_e32 v13, 0x80a, v19
	global_store_dword v[8:9], v12, off
	v_mov_b32_e32 v16, v11
	v_mad_u64_u32 v[11:12], s[4:5], s2, v13, 0
	v_lshlrev_b64 v[8:9], 2, v[15:16]
	v_pack_b32_f16 v15, v58, v57
	v_mad_u64_u32 v[12:13], s[4:5], s3, v13, v[12:13]
	v_add_u32_e32 v13, 0xf5, v14
	v_mul_hi_u32 v16, v13, s1
	v_add_co_u32_e32 v8, vcc, v4, v8
	v_addc_co_u32_e32 v9, vcc, v5, v9, vcc
	global_store_dword v[8:9], v15, off
	v_lshlrev_b64 v[8:9], 2, v[11:12]
	v_lshrrev_b32_e32 v11, 8, v16
	v_mad_u32_u24 v19, v11, s0, v13
	v_mad_u64_u32 v[11:12], s[4:5], s2, v19, 0
	v_add_co_u32_e32 v8, vcc, v4, v8
	v_mad_u64_u32 v[12:13], s[4:5], s3, v19, v[12:13]
	v_add_u32_e32 v13, 0x157, v19
	v_mad_u64_u32 v[15:16], s[4:5], s2, v13, 0
	v_addc_co_u32_e32 v9, vcc, v5, v9, vcc
	v_pack_b32_f16 v17, v56, v17
	global_store_dword v[8:9], v17, off
	v_lshlrev_b64 v[8:9], 2, v[11:12]
	v_mov_b32_e32 v11, v16
	v_mad_u64_u32 v[11:12], s[4:5], s3, v13, v[11:12]
	v_add_co_u32_e32 v8, vcc, v4, v8
	v_addc_co_u32_e32 v9, vcc, v5, v9, vcc
	v_pack_b32_f16 v12, v70, v67
	v_add_u32_e32 v13, 0x2ae, v19
	global_store_dword v[8:9], v12, off
	v_mov_b32_e32 v16, v11
	v_mad_u64_u32 v[11:12], s[4:5], s2, v13, 0
	v_lshlrev_b64 v[8:9], 2, v[15:16]
	v_pack_b32_f16 v17, v74, v73
	v_mad_u64_u32 v[12:13], s[4:5], s3, v13, v[12:13]
	v_add_u32_e32 v13, 0x405, v19
	v_mad_u64_u32 v[15:16], s[4:5], s2, v13, 0
	v_add_co_u32_e32 v8, vcc, v4, v8
	v_addc_co_u32_e32 v9, vcc, v5, v9, vcc
	global_store_dword v[8:9], v17, off
	v_lshlrev_b64 v[8:9], 2, v[11:12]
	v_mov_b32_e32 v11, v16
	v_mad_u64_u32 v[11:12], s[4:5], s3, v13, v[11:12]
	v_add_co_u32_e32 v8, vcc, v4, v8
	v_addc_co_u32_e32 v9, vcc, v5, v9, vcc
	v_pack_b32_f16 v12, v72, v71
	v_add_u32_e32 v13, 0x55c, v19
	global_store_dword v[8:9], v12, off
	v_mov_b32_e32 v16, v11
	v_mad_u64_u32 v[11:12], s[4:5], s2, v13, 0
	v_lshlrev_b64 v[8:9], 2, v[15:16]
	v_pack_b32_f16 v17, v69, v68
	v_mad_u64_u32 v[12:13], s[4:5], s3, v13, v[12:13]
	v_add_u32_e32 v13, 0x6b3, v19
	v_mad_u64_u32 v[15:16], s[4:5], s2, v13, 0
	v_add_co_u32_e32 v8, vcc, v4, v8
	v_addc_co_u32_e32 v9, vcc, v5, v9, vcc
	global_store_dword v[8:9], v17, off
	v_lshlrev_b64 v[8:9], 2, v[11:12]
	v_mov_b32_e32 v11, v16
	v_mad_u64_u32 v[11:12], s[4:5], s3, v13, v[11:12]
	v_add_co_u32_e32 v8, vcc, v4, v8
	v_addc_co_u32_e32 v9, vcc, v5, v9, vcc
	v_pack_b32_f16 v12, v66, v65
	v_add_u32_e32 v13, 0x80a, v19
	global_store_dword v[8:9], v12, off
	v_mov_b32_e32 v16, v11
	v_mad_u64_u32 v[11:12], s[4:5], s2, v13, 0
	v_add_u32_e32 v14, 0x126, v14
	v_lshlrev_b64 v[8:9], 2, v[15:16]
	v_mul_hi_u32 v16, v14, s1
	v_mad_u64_u32 v[12:13], s[4:5], s3, v13, v[12:13]
	v_add_co_u32_e32 v8, vcc, v4, v8
	v_lshrrev_b32_e32 v13, 8, v16
	v_mad_u32_u24 v16, v13, s0, v14
	v_mad_u64_u32 v[13:14], s[0:1], s2, v16, 0
	v_addc_co_u32_e32 v9, vcc, v5, v9, vcc
	v_pack_b32_f16 v15, v64, v63
	global_store_dword v[8:9], v15, off
	v_lshlrev_b64 v[8:9], 2, v[11:12]
	v_mov_b32_e32 v11, v14
	v_mad_u64_u32 v[11:12], s[0:1], s3, v16, v[11:12]
	v_add_co_u32_e32 v8, vcc, v4, v8
	v_addc_co_u32_e32 v9, vcc, v5, v9, vcc
	v_pack_b32_f16 v12, v28, v18
	v_mov_b32_e32 v14, v11
	global_store_dword v[8:9], v12, off
	v_lshlrev_b64 v[8:9], 2, v[13:14]
	v_add_u32_e32 v13, 0x157, v16
	v_mad_u64_u32 v[11:12], s[0:1], s2, v13, 0
	v_add_u32_e32 v17, 0x2ae, v16
	v_add_co_u32_e32 v8, vcc, v4, v8
	v_mad_u64_u32 v[12:13], s[0:1], s3, v13, v[12:13]
	v_mad_u64_u32 v[13:14], s[0:1], s2, v17, 0
	v_addc_co_u32_e32 v9, vcc, v5, v9, vcc
	v_pack_b32_f16 v15, v23, v22
	global_store_dword v[8:9], v15, off
	v_lshlrev_b64 v[8:9], 2, v[11:12]
	v_mov_b32_e32 v11, v14
	v_mad_u64_u32 v[11:12], s[0:1], s3, v17, v[11:12]
	v_add_co_u32_e32 v8, vcc, v4, v8
	v_addc_co_u32_e32 v9, vcc, v5, v9, vcc
	v_pack_b32_f16 v12, v27, v26
	v_mov_b32_e32 v14, v11
	global_store_dword v[8:9], v12, off
	v_lshlrev_b64 v[8:9], 2, v[13:14]
	v_add_u32_e32 v13, 0x405, v16
	v_mad_u64_u32 v[11:12], s[0:1], s2, v13, 0
	v_add_u32_e32 v17, 0x55c, v16
	v_add_co_u32_e32 v8, vcc, v4, v8
	v_mad_u64_u32 v[12:13], s[0:1], s3, v13, v[12:13]
	v_mad_u64_u32 v[13:14], s[0:1], s2, v17, 0
	v_addc_co_u32_e32 v9, vcc, v5, v9, vcc
	v_pack_b32_f16 v15, v25, v24
	global_store_dword v[8:9], v15, off
	v_lshlrev_b64 v[8:9], 2, v[11:12]
	v_mov_b32_e32 v11, v14
	v_mad_u64_u32 v[11:12], s[0:1], s3, v17, v[11:12]
	v_add_co_u32_e32 v8, vcc, v4, v8
	v_addc_co_u32_e32 v9, vcc, v5, v9, vcc
	v_pack_b32_f16 v10, v20, v10
	v_add_u32_e32 v12, 0x6b3, v16
	global_store_dword v[8:9], v10, off
	v_mov_b32_e32 v14, v11
	v_mad_u64_u32 v[10:11], s[0:1], s2, v12, 0
	v_lshlrev_b64 v[8:9], 2, v[13:14]
	v_pack_b32_f16 v14, v7, v6
	v_mov_b32_e32 v6, v11
	v_add_u32_e32 v15, 0x80a, v16
	v_mad_u64_u32 v[6:7], s[0:1], s3, v12, v[6:7]
	v_mad_u64_u32 v[12:13], s[0:1], s2, v15, 0
	v_add_co_u32_e32 v8, vcc, v4, v8
	v_addc_co_u32_e32 v9, vcc, v5, v9, vcc
	global_store_dword v[8:9], v14, off
	v_mov_b32_e32 v8, v13
	v_mov_b32_e32 v11, v6
	v_mad_u64_u32 v[8:9], s[0:1], s3, v15, v[8:9]
	v_lshlrev_b64 v[6:7], 2, v[10:11]
	v_pack_b32_f16 v2, v3, v2
	v_add_co_u32_e32 v6, vcc, v4, v6
	v_addc_co_u32_e32 v7, vcc, v5, v7, vcc
	v_mov_b32_e32 v13, v8
	global_store_dword v[6:7], v2, off
	v_lshlrev_b64 v[2:3], 2, v[12:13]
	v_pack_b32_f16 v0, v1, v0
	v_add_co_u32_e32 v2, vcc, v4, v2
	v_addc_co_u32_e32 v3, vcc, v5, v3, vcc
	global_store_dword v[2:3], v0, off
.LBB0_15:
	s_endpgm
	.section	.rodata,"a",@progbits
	.p2align	6, 0x0
	.amdhsa_kernel fft_rtc_back_len2401_factors_7_7_7_7_wgs_49_tpt_49_halfLds_half_ip_CI_sbrr_dirReg
		.amdhsa_group_segment_fixed_size 0
		.amdhsa_private_segment_fixed_size 0
		.amdhsa_kernarg_size 88
		.amdhsa_user_sgpr_count 6
		.amdhsa_user_sgpr_private_segment_buffer 1
		.amdhsa_user_sgpr_dispatch_ptr 0
		.amdhsa_user_sgpr_queue_ptr 0
		.amdhsa_user_sgpr_kernarg_segment_ptr 1
		.amdhsa_user_sgpr_dispatch_id 0
		.amdhsa_user_sgpr_flat_scratch_init 0
		.amdhsa_user_sgpr_private_segment_size 0
		.amdhsa_uses_dynamic_stack 0
		.amdhsa_system_sgpr_private_segment_wavefront_offset 0
		.amdhsa_system_sgpr_workgroup_id_x 1
		.amdhsa_system_sgpr_workgroup_id_y 0
		.amdhsa_system_sgpr_workgroup_id_z 0
		.amdhsa_system_sgpr_workgroup_info 0
		.amdhsa_system_vgpr_workitem_id 0
		.amdhsa_next_free_vgpr 170
		.amdhsa_next_free_sgpr 24
		.amdhsa_reserve_vcc 1
		.amdhsa_reserve_flat_scratch 0
		.amdhsa_float_round_mode_32 0
		.amdhsa_float_round_mode_16_64 0
		.amdhsa_float_denorm_mode_32 3
		.amdhsa_float_denorm_mode_16_64 3
		.amdhsa_dx10_clamp 1
		.amdhsa_ieee_mode 1
		.amdhsa_fp16_overflow 0
		.amdhsa_exception_fp_ieee_invalid_op 0
		.amdhsa_exception_fp_denorm_src 0
		.amdhsa_exception_fp_ieee_div_zero 0
		.amdhsa_exception_fp_ieee_overflow 0
		.amdhsa_exception_fp_ieee_underflow 0
		.amdhsa_exception_fp_ieee_inexact 0
		.amdhsa_exception_int_div_zero 0
	.end_amdhsa_kernel
	.text
.Lfunc_end0:
	.size	fft_rtc_back_len2401_factors_7_7_7_7_wgs_49_tpt_49_halfLds_half_ip_CI_sbrr_dirReg, .Lfunc_end0-fft_rtc_back_len2401_factors_7_7_7_7_wgs_49_tpt_49_halfLds_half_ip_CI_sbrr_dirReg
                                        ; -- End function
	.section	.AMDGPU.csdata,"",@progbits
; Kernel info:
; codeLenInByte = 30788
; NumSgprs: 28
; NumVgprs: 170
; ScratchSize: 0
; MemoryBound: 0
; FloatMode: 240
; IeeeMode: 1
; LDSByteSize: 0 bytes/workgroup (compile time only)
; SGPRBlocks: 3
; VGPRBlocks: 42
; NumSGPRsForWavesPerEU: 28
; NumVGPRsForWavesPerEU: 170
; Occupancy: 1
; WaveLimiterHint : 1
; COMPUTE_PGM_RSRC2:SCRATCH_EN: 0
; COMPUTE_PGM_RSRC2:USER_SGPR: 6
; COMPUTE_PGM_RSRC2:TRAP_HANDLER: 0
; COMPUTE_PGM_RSRC2:TGID_X_EN: 1
; COMPUTE_PGM_RSRC2:TGID_Y_EN: 0
; COMPUTE_PGM_RSRC2:TGID_Z_EN: 0
; COMPUTE_PGM_RSRC2:TIDIG_COMP_CNT: 0
	.type	__hip_cuid_274bc17ca091699c,@object ; @__hip_cuid_274bc17ca091699c
	.section	.bss,"aw",@nobits
	.globl	__hip_cuid_274bc17ca091699c
__hip_cuid_274bc17ca091699c:
	.byte	0                               ; 0x0
	.size	__hip_cuid_274bc17ca091699c, 1

	.ident	"AMD clang version 19.0.0git (https://github.com/RadeonOpenCompute/llvm-project roc-6.4.0 25133 c7fe45cf4b819c5991fe208aaa96edf142730f1d)"
	.section	".note.GNU-stack","",@progbits
	.addrsig
	.addrsig_sym __hip_cuid_274bc17ca091699c
	.amdgpu_metadata
---
amdhsa.kernels:
  - .args:
      - .actual_access:  read_only
        .address_space:  global
        .offset:         0
        .size:           8
        .value_kind:     global_buffer
      - .offset:         8
        .size:           8
        .value_kind:     by_value
      - .actual_access:  read_only
        .address_space:  global
        .offset:         16
        .size:           8
        .value_kind:     global_buffer
      - .actual_access:  read_only
        .address_space:  global
        .offset:         24
        .size:           8
        .value_kind:     global_buffer
      - .offset:         32
        .size:           8
        .value_kind:     by_value
      - .actual_access:  read_only
        .address_space:  global
        .offset:         40
        .size:           8
        .value_kind:     global_buffer
      - .actual_access:  read_only
        .address_space:  global
        .offset:         48
        .size:           8
        .value_kind:     global_buffer
      - .offset:         56
        .size:           4
        .value_kind:     by_value
      - .actual_access:  read_only
        .address_space:  global
        .offset:         64
        .size:           8
        .value_kind:     global_buffer
      - .actual_access:  read_only
        .address_space:  global
        .offset:         72
        .size:           8
        .value_kind:     global_buffer
      - .address_space:  global
        .offset:         80
        .size:           8
        .value_kind:     global_buffer
    .group_segment_fixed_size: 0
    .kernarg_segment_align: 8
    .kernarg_segment_size: 88
    .language:       OpenCL C
    .language_version:
      - 2
      - 0
    .max_flat_workgroup_size: 49
    .name:           fft_rtc_back_len2401_factors_7_7_7_7_wgs_49_tpt_49_halfLds_half_ip_CI_sbrr_dirReg
    .private_segment_fixed_size: 0
    .sgpr_count:     28
    .sgpr_spill_count: 0
    .symbol:         fft_rtc_back_len2401_factors_7_7_7_7_wgs_49_tpt_49_halfLds_half_ip_CI_sbrr_dirReg.kd
    .uniform_work_group_size: 1
    .uses_dynamic_stack: false
    .vgpr_count:     170
    .vgpr_spill_count: 0
    .wavefront_size: 64
amdhsa.target:   amdgcn-amd-amdhsa--gfx906
amdhsa.version:
  - 1
  - 2
...

	.end_amdgpu_metadata
